;; amdgpu-corpus repo=ROCm/rocFFT kind=compiled arch=gfx1201 opt=O3
	.text
	.amdgcn_target "amdgcn-amd-amdhsa--gfx1201"
	.amdhsa_code_object_version 6
	.protected	bluestein_single_fwd_len1512_dim1_half_op_CI_CI ; -- Begin function bluestein_single_fwd_len1512_dim1_half_op_CI_CI
	.globl	bluestein_single_fwd_len1512_dim1_half_op_CI_CI
	.p2align	8
	.type	bluestein_single_fwd_len1512_dim1_half_op_CI_CI,@function
bluestein_single_fwd_len1512_dim1_half_op_CI_CI: ; @bluestein_single_fwd_len1512_dim1_half_op_CI_CI
; %bb.0:
	s_load_b128 s[12:15], s[0:1], 0x28
	v_mul_u32_u24_e32 v1, 0x411, v0
	s_mov_b32 s2, exec_lo
	v_mov_b32_e32 v17, 0
	s_delay_alu instid0(VALU_DEP_2) | instskip(NEXT) | instid1(VALU_DEP_1)
	v_lshrrev_b32_e32 v1, 16, v1
	v_add_nc_u32_e32 v16, ttmp9, v1
	s_wait_kmcnt 0x0
	s_delay_alu instid0(VALU_DEP_1)
	v_cmpx_gt_u64_e64 s[12:13], v[16:17]
	s_cbranch_execz .LBB0_10
; %bb.1:
	s_clause 0x1
	s_load_b128 s[4:7], s[0:1], 0x18
	s_load_b128 s[8:11], s[0:1], 0x0
	v_mul_lo_u16 v1, v1, 63
                                        ; implicit-def: $vgpr142
                                        ; implicit-def: $vgpr138
                                        ; implicit-def: $vgpr132
                                        ; implicit-def: $vgpr136
                                        ; implicit-def: $vgpr139
	s_delay_alu instid0(VALU_DEP_1) | instskip(NEXT) | instid1(VALU_DEP_1)
	v_sub_nc_u16 v29, v0, v1
	v_and_b32_e32 v128, 0xffff, v29
	s_wait_kmcnt 0x0
	s_load_b128 s[16:19], s[4:5], 0x0
	s_movk_i32 s4, 0xf52c
	s_mov_b32 s5, -1
	s_wait_kmcnt 0x0
	v_mad_co_u64_u32 v[0:1], null, s18, v16, 0
	v_mad_co_u64_u32 v[2:3], null, s16, v128, 0
	s_mul_u64 s[2:3], s[16:17], 0xbd0
	s_mul_u64 s[4:5], s[16:17], s[4:5]
	s_delay_alu instid0(VALU_DEP_1) | instskip(NEXT) | instid1(VALU_DEP_1)
	v_mad_co_u64_u32 v[4:5], null, s19, v16, v[1:2]
	v_mov_b32_e32 v1, v4
	s_delay_alu instid0(VALU_DEP_3)
	v_mad_co_u64_u32 v[5:6], null, s17, v128, v[3:4]
	v_lshlrev_b32_e32 v93, 2, v128
	s_clause 0x2
	global_load_b32 v134, v93, s[8:9] offset:3024
	global_load_b32 v131, v93, s[8:9] offset:3276
	;; [unrolled: 1-line block ×3, first 2 shown]
	v_dual_mov_b32 v3, v5 :: v_dual_add_nc_u32 v30, 0xc00, v93
	v_lshlrev_b64_e32 v[0:1], 2, v[0:1]
	s_clause 0x2
	global_load_b32 v137, v93, s[8:9]
	global_load_b32 v135, v93, s[8:9] offset:252
	global_load_b32 v129, v93, s[8:9] offset:504
	v_add_nc_u32_e32 v70, 0x200, v93
	v_lshlrev_b64_e32 v[2:3], 2, v[2:3]
	v_add_nc_u32_e32 v35, 0x1000, v93
	v_add_nc_u32_e32 v154, 0x400, v93
	v_add_co_u32 v0, vcc_lo, s14, v0
	v_add_co_ci_u32_e32 v1, vcc_lo, s15, v1, vcc_lo
	v_add_nc_u32_e32 v36, 0x1400, v93
	s_delay_alu instid0(VALU_DEP_3) | instskip(SKIP_1) | instid1(VALU_DEP_3)
	v_add_co_u32 v0, vcc_lo, v0, v2
	s_wait_alu 0xfffd
	v_add_co_ci_u32_e32 v1, vcc_lo, v1, v3, vcc_lo
	v_add_nc_u32_e32 v69, 0x800, v93
	s_delay_alu instid0(VALU_DEP_3) | instskip(SKIP_1) | instid1(VALU_DEP_3)
	v_add_co_u32 v2, vcc_lo, v0, s2
	s_wait_alu 0xfffd
	v_add_co_ci_u32_e32 v3, vcc_lo, s3, v1, vcc_lo
	global_load_b32 v12, v[0:1], off
	v_add_nc_u32_e32 v76, 0xa00, v93
	v_add_nc_u32_e32 v79, 0xe00, v93
	global_load_b32 v11, v[2:3], off
	v_add_co_u32 v0, vcc_lo, v2, s4
	s_wait_alu 0xfffd
	v_add_co_ci_u32_e32 v1, vcc_lo, s5, v3, vcc_lo
	v_lshlrev_b32_e32 v104, 3, v128
	s_delay_alu instid0(VALU_DEP_3) | instskip(SKIP_1) | instid1(VALU_DEP_3)
	v_add_co_u32 v2, vcc_lo, v0, s2
	s_wait_alu 0xfffd
	v_add_co_ci_u32_e32 v3, vcc_lo, s3, v1, vcc_lo
	s_clause 0x1
	global_load_b32 v10, v[0:1], off
	global_load_b32 v6, v[2:3], off
	v_add_co_u32 v0, vcc_lo, v2, s4
	s_wait_alu 0xfffd
	v_add_co_ci_u32_e32 v1, vcc_lo, s5, v3, vcc_lo
	global_load_b32 v124, v93, s[8:9] offset:756
	v_add_co_u32 v2, vcc_lo, v0, s2
	s_wait_alu 0xfffd
	v_add_co_ci_u32_e32 v3, vcc_lo, s3, v1, vcc_lo
	global_load_b32 v8, v[0:1], off
	global_load_b32 v7, v[2:3], off
	v_add_co_u32 v0, vcc_lo, v2, s4
	s_wait_alu 0xfffd
	v_add_co_ci_u32_e32 v1, vcc_lo, s5, v3, vcc_lo
	global_load_b32 v9, v[0:1], off
	global_load_b32 v121, v93, s[8:9] offset:3780
	v_add_co_u32 v0, vcc_lo, v0, s2
	s_wait_alu 0xfffd
	v_add_co_ci_u32_e32 v1, vcc_lo, s3, v1, vcc_lo
	v_add_nc_u32_e32 v71, 0x1200, v93
	v_add_co_u32 v237, null, 0xbd, v128
	global_load_b32 v4, v[0:1], off
	v_add_co_u32 v0, vcc_lo, v0, s4
	s_wait_alu 0xfffd
	v_add_co_ci_u32_e32 v1, vcc_lo, s5, v1, vcc_lo
	v_lshlrev_b32_e32 v28, 1, v128
	s_delay_alu instid0(VALU_DEP_3) | instskip(SKIP_1) | instid1(VALU_DEP_3)
	v_add_co_u32 v13, vcc_lo, v0, s2
	s_wait_alu 0xfffd
	v_add_co_ci_u32_e32 v14, vcc_lo, s3, v1, vcc_lo
	global_load_b32 v116, v93, s[8:9] offset:4032
	global_load_b32 v5, v[13:14], off
	global_load_b32 v119, v93, s[8:9] offset:1008
	global_load_b32 v2, v[0:1], off
	v_add_co_u32 v0, vcc_lo, v13, s4
	s_wait_alu 0xfffd
	v_add_co_ci_u32_e32 v1, vcc_lo, s5, v14, vcc_lo
	global_load_b32 v22, v93, s[8:9] offset:1260
	global_load_b32 v3, v[0:1], off
	s_clause 0x2
	global_load_b32 v23, v93, s[8:9] offset:1512
	global_load_b32 v21, v93, s[8:9] offset:1764
	;; [unrolled: 1-line block ×3, first 2 shown]
	v_add_co_u32 v0, vcc_lo, v0, s2
	s_wait_alu 0xfffd
	v_add_co_ci_u32_e32 v1, vcc_lo, s3, v1, vcc_lo
	v_and_b32_e32 v39, 1, v128
	v_add_nc_u32_e32 v230, 0x2b5, v128
	v_add_nc_u32_e32 v235, 0x237, v128
	;; [unrolled: 1-line block ×4, first 2 shown]
	v_and_b32_e32 v52, 3, v237
	v_and_b32_e32 v41, 1, v230
	;; [unrolled: 1-line block ×6, first 2 shown]
	s_wait_loadcnt 0x18
	v_lshrrev_b32_e32 v24, 16, v134
	s_wait_loadcnt 0x17
	v_lshrrev_b32_e32 v27, 16, v131
	;; [unrolled: 2-line block ×7, first 2 shown]
	v_mul_f16_e32 v14, v15, v12
	s_wait_loadcnt 0x11
	v_lshrrev_b32_e32 v17, 16, v11
	v_mul_f16_e32 v18, v24, v11
	v_mul_f16_e32 v15, v15, v13
	v_fma_f16 v13, v137, v13, -v14
	s_delay_alu instid0(VALU_DEP_2)
	v_fmac_f16_e64 v15, v137, v12
	v_mul_f16_e32 v12, v24, v17
	v_fma_f16 v17, v134, v17, -v18
	s_wait_loadcnt 0x10
	v_lshrrev_b32_e32 v14, 16, v10
	v_mul_f16_e32 v18, v19, v10
	v_fmac_f16_e64 v12, v134, v11
	v_pack_b32_f16 v13, v15, v13
	s_wait_loadcnt 0xf
	v_lshrrev_b32_e32 v15, 16, v6
	v_mul_f16_e32 v11, v19, v14
	v_mul_f16_e32 v19, v27, v6
	v_fma_f16 v14, v135, v14, -v18
	v_pack_b32_f16 v12, v12, v17
	s_wait_loadcnt 0xe
	v_lshrrev_b32_e32 v24, 16, v124
	v_fmac_f16_e64 v11, v135, v10
	v_fma_f16 v10, v131, v15, -v19
	v_mul_f16_e32 v15, v27, v15
	s_wait_loadcnt 0xd
	v_lshrrev_b32_e32 v17, 16, v8
	v_mul_f16_e32 v18, v26, v8
	ds_store_b32 v93, v12 offset:3024
	v_pack_b32_f16 v11, v11, v14
	s_wait_loadcnt 0xc
	v_lshrrev_b32_e32 v12, 16, v7
	v_mul_f16_e32 v14, v25, v7
	v_fmac_f16_e64 v15, v131, v6
	v_fma_f16 v6, v129, v17, -v18
	v_mul_f16_e32 v17, v26, v17
	v_mul_f16_e32 v18, v25, v12
	v_fma_f16 v12, v126, v12, -v14
	s_wait_loadcnt 0xb
	v_lshrrev_b32_e32 v14, 16, v9
	s_wait_loadcnt 0xa
	v_lshrrev_b32_e32 v19, 16, v121
	v_fmac_f16_e64 v17, v129, v8
	v_mul_f16_e32 v8, v24, v9
	v_fmac_f16_e32 v18, v126, v7
	v_mul_f16_e32 v7, v24, v14
	ds_store_2addr_b32 v93, v13, v11 offset1:63
	s_wait_loadcnt 0x9
	v_mul_f16_e32 v11, v19, v4
	v_fma_f16 v8, v124, v14, -v8
	v_pack_b32_f16 v6, v17, v6
	v_fmac_f16_e32 v7, v124, v9
	v_pack_b32_f16 v9, v15, v10
	v_pack_b32_f16 v10, v18, v12
	s_delay_alu instid0(VALU_DEP_3)
	v_pack_b32_f16 v7, v7, v8
	v_lshrrev_b32_e32 v8, 16, v4
	ds_store_2addr_b32 v30, v9, v10 offset0:51 offset1:114
	ds_store_2addr_b32 v93, v6, v7 offset0:126 offset1:189
	s_clause 0x6
	global_load_b32 v122, v93, s[8:9] offset:4284
	global_load_b32 v117, v93, s[8:9] offset:4536
	;; [unrolled: 1-line block ×7, first 2 shown]
	v_mul_f16_e32 v6, v19, v8
	v_fma_f16 v7, v121, v8, -v11
	s_wait_loadcnt 0xf
	v_lshrrev_b32_e32 v11, 16, v116
	s_delay_alu instid0(VALU_DEP_3) | instskip(SKIP_2) | instid1(VALU_DEP_3)
	v_fmac_f16_e32 v6, v121, v4
	s_wait_loadcnt 0xe
	v_lshrrev_b32_e32 v4, 16, v5
	v_mul_f16_e32 v8, v11, v5
	s_delay_alu instid0(VALU_DEP_1) | instskip(SKIP_1) | instid1(VALU_DEP_1)
	v_fma_f16 v8, v116, v4, -v8
	v_mul_f16_e32 v4, v11, v4
	v_fmac_f16_e32 v4, v116, v5
	v_pack_b32_f16 v5, v6, v7
	s_wait_loadcnt 0xd
	v_lshrrev_b32_e32 v7, 16, v119
	s_wait_loadcnt 0xc
	v_lshrrev_b32_e32 v6, 16, v2
	v_pack_b32_f16 v4, v4, v8
	global_load_b32 v8, v[0:1], off
	ds_store_2addr_b32 v30, v5, v4 offset0:177 offset1:240
	v_mul_f16_e32 v5, v7, v6
	v_mul_f16_e32 v4, v7, v2
	s_wait_loadcnt 0xc
	v_lshrrev_b32_e32 v7, 16, v22
	s_delay_alu instid0(VALU_DEP_3)
	v_fmac_f16_e32 v5, v119, v2
	s_wait_loadcnt 0xb
	v_lshrrev_b32_e32 v2, 16, v3
	v_fma_f16 v4, v119, v6, -v4
	v_mul_f16_e32 v6, v7, v3
	scratch_store_b32 off, v7, off offset:92 ; 4-byte Folded Spill
	v_mul_f16_e32 v7, v7, v2
	v_fma_f16 v6, v22, v2, -v6
	v_add_co_u32 v2, vcc_lo, v0, s4
	s_delay_alu instid0(VALU_DEP_3) | instskip(SKIP_3) | instid1(VALU_DEP_3)
	v_fmac_f16_e32 v7, v22, v3
	s_wait_alu 0xfffd
	v_add_co_ci_u32_e32 v3, vcc_lo, s5, v1, vcc_lo
	v_pack_b32_f16 v0, v5, v4
	v_pack_b32_f16 v1, v7, v6
	ds_store_2addr_b32 v70, v0, v1 offset0:124 offset1:187
	v_add_co_u32 v0, vcc_lo, v2, s2
	s_wait_alu 0xfffd
	v_add_co_ci_u32_e32 v1, vcc_lo, s3, v3, vcc_lo
	global_load_b32 v2, v[2:3], off
	v_add_co_u32 v4, vcc_lo, v0, s4
	global_load_b32 v0, v[0:1], off
	s_wait_alu 0xfffd
	v_add_co_ci_u32_e32 v5, vcc_lo, s5, v1, vcc_lo
	global_load_b32 v3, v[4:5], off
	s_wait_loadcnt 0xa
	v_lshrrev_b32_e32 v7, 16, v122
	s_wait_loadcnt 0x9
	v_lshrrev_b32_e32 v11, 16, v117
	s_wait_loadcnt 0x8
	scratch_store_b32 off, v14, off offset:68 ; 4-byte Folded Spill
	s_wait_loadcnt 0x7
	scratch_store_b32 off, v12, off offset:48 ; 4-byte Folded Spill
	s_wait_loadcnt 0x3
	v_lshrrev_b32_e32 v1, 16, v8
	v_mul_f16_e32 v6, v7, v8
	s_delay_alu instid0(VALU_DEP_1) | instskip(SKIP_1) | instid1(VALU_DEP_1)
	v_fma_f16 v6, v122, v1, -v6
	v_mul_f16_e32 v1, v7, v1
	v_fmac_f16_e32 v1, v122, v8
	s_wait_loadcnt 0x1
	v_lshrrev_b32_e32 v7, 16, v0
	v_mul_f16_e32 v8, v11, v0
	s_delay_alu instid0(VALU_DEP_1)
	v_fma_f16 v8, v117, v7, -v8
	v_mul_f16_e32 v7, v11, v7
	v_lshrrev_b32_e32 v11, 16, v12
	scratch_store_b32 off, v21, off offset:60 ; 4-byte Folded Spill
	v_fmac_f16_e32 v7, v117, v0
	v_pack_b32_f16 v0, v1, v6
	v_lshrrev_b32_e32 v6, 16, v23
	scratch_store_b32 off, v11, off offset:52 ; 4-byte Folded Spill
	v_pack_b32_f16 v1, v7, v8
	v_lshrrev_b32_e32 v7, 16, v21
	scratch_store_b32 off, v6, off offset:88 ; 4-byte Folded Spill
	v_lshrrev_b32_e32 v8, 16, v14
	scratch_store_b32 off, v22, off offset:76 ; 4-byte Folded Spill
	ds_store_2addr_b32 v35, v0, v1 offset0:47 offset1:110
	scratch_store_b32 off, v7, off offset:80 ; 4-byte Folded Spill
	v_add_co_u32 v0, vcc_lo, v4, s2
	s_wait_alu 0xfffd
	v_add_co_ci_u32_e32 v1, vcc_lo, s3, v5, vcc_lo
	v_lshrrev_b32_e32 v4, 16, v2
	v_mul_f16_e32 v5, v6, v2
	s_clause 0x1
	scratch_store_b32 off, v23, off offset:84
	scratch_store_b32 off, v8, off offset:72
	v_fma_f16 v5, v23, v4, -v5
	v_mul_f16_e32 v4, v6, v4
	s_wait_loadcnt 0x0
	v_mul_f16_e32 v6, v7, v3
	s_delay_alu instid0(VALU_DEP_2) | instskip(SKIP_2) | instid1(VALU_DEP_2)
	v_fmac_f16_e32 v4, v23, v2
	v_lshrrev_b32_e32 v2, 16, v3
	v_add_nc_u32_e32 v23, 0x600, v93
	v_fma_f16 v6, v21, v2, -v6
	v_mul_f16_e32 v2, v7, v2
	s_delay_alu instid0(VALU_DEP_1) | instskip(SKIP_1) | instid1(VALU_DEP_2)
	v_fmac_f16_e32 v2, v21, v3
	v_pack_b32_f16 v3, v4, v5
	v_pack_b32_f16 v2, v2, v6
	global_load_b32 v6, v[0:1], off
	ds_store_2addr_b32 v154, v3, v2 offset0:122 offset1:185
	v_add_co_u32 v2, vcc_lo, v0, s4
	s_wait_alu 0xfffd
	v_add_co_ci_u32_e32 v3, vcc_lo, s5, v1, vcc_lo
	s_delay_alu instid0(VALU_DEP_2) | instskip(SKIP_1) | instid1(VALU_DEP_2)
	v_add_co_u32 v0, vcc_lo, v2, s2
	s_wait_alu 0xfffd
	v_add_co_ci_u32_e32 v1, vcc_lo, s3, v3, vcc_lo
	global_load_b32 v2, v[2:3], off
	v_add_co_u32 v4, vcc_lo, v0, s4
	global_load_b32 v0, v[0:1], off
	s_wait_alu 0xfffd
	v_add_co_ci_u32_e32 v5, vcc_lo, s5, v1, vcc_lo
	s_wait_loadcnt 0x2
	v_lshrrev_b32_e32 v1, 16, v6
	v_mul_f16_e32 v7, v8, v6
	s_delay_alu instid0(VALU_DEP_1) | instskip(SKIP_1) | instid1(VALU_DEP_1)
	v_fma_f16 v7, v14, v1, -v7
	v_mul_f16_e32 v1, v8, v1
	v_fmac_f16_e32 v1, v14, v6
	s_wait_loadcnt 0x0
	v_lshrrev_b32_e32 v6, 16, v0
	v_mul_f16_e32 v8, v11, v0
	s_delay_alu instid0(VALU_DEP_1) | instskip(SKIP_2) | instid1(VALU_DEP_2)
	v_fma_f16 v8, v12, v6, -v8
	v_mul_f16_e32 v6, v11, v6
	v_lshrrev_b32_e32 v11, 16, v10
	v_fmac_f16_e32 v6, v12, v0
	v_pack_b32_f16 v0, v1, v7
	s_delay_alu instid0(VALU_DEP_2)
	v_pack_b32_f16 v1, v6, v8
	ds_store_2addr_b32 v35, v0, v1 offset0:173 offset1:236
	global_load_b32 v3, v[4:5], off
	s_clause 0x2
	global_load_b32 v6, v93, s[8:9] offset:2016
	global_load_b32 v7, v93, s[8:9] offset:2268
	;; [unrolled: 1-line block ×3, first 2 shown]
	v_add_co_u32 v0, vcc_lo, v4, s2
	s_wait_alu 0xfffd
	v_add_co_ci_u32_e32 v1, vcc_lo, s3, v5, vcc_lo
	v_lshrrev_b32_e32 v4, 16, v2
	scratch_store_b32 off, v9, off          ; 4-byte Folded Spill
	s_wait_loadcnt 0x2
	v_lshrrev_b32_e32 v8, 16, v6
	s_wait_loadcnt 0x0
	scratch_store_b32 off, v12, off offset:24 ; 4-byte Folded Spill
	v_mul_f16_e32 v5, v8, v2
	scratch_store_b32 off, v8, off offset:64 ; 4-byte Folded Spill
	v_fma_f16 v5, v6, v4, -v5
	v_mul_f16_e32 v4, v8, v4
	v_lshrrev_b32_e32 v8, 16, v7
	scratch_store_b32 off, v6, off offset:56 ; 4-byte Folded Spill
	v_fmac_f16_e32 v4, v6, v2
	scratch_store_b32 off, v8, off offset:44 ; 4-byte Folded Spill
	v_lshrrev_b32_e32 v2, 16, v3
	v_mul_f16_e32 v6, v8, v3
	s_delay_alu instid0(VALU_DEP_1)
	v_fma_f16 v6, v7, v2, -v6
	v_mul_f16_e32 v2, v8, v2
	v_lshrrev_b32_e32 v8, 16, v13
	scratch_store_b32 off, v7, off offset:40 ; 4-byte Folded Spill
	v_fmac_f16_e32 v2, v7, v3
	scratch_store_b32 off, v8, off offset:36 ; 4-byte Folded Spill
	v_pack_b32_f16 v3, v4, v5
	v_pack_b32_f16 v2, v2, v6
	global_load_b32 v6, v[0:1], off
	ds_store_2addr_b32 v23, v3, v2 offset0:120 offset1:183
	v_add_co_u32 v2, vcc_lo, v0, s4
	s_wait_alu 0xfffd
	v_add_co_ci_u32_e32 v3, vcc_lo, s5, v1, vcc_lo
	s_delay_alu instid0(VALU_DEP_2) | instskip(SKIP_1) | instid1(VALU_DEP_2)
	v_add_co_u32 v0, vcc_lo, v2, s2
	s_wait_alu 0xfffd
	v_add_co_ci_u32_e32 v1, vcc_lo, s3, v3, vcc_lo
	global_load_b32 v2, v[2:3], off
	v_add_co_u32 v4, vcc_lo, v0, s4
	global_load_b32 v0, v[0:1], off
	s_wait_alu 0xfffd
	v_add_co_ci_u32_e32 v5, vcc_lo, s5, v1, vcc_lo
	s_load_b128 s[4:7], s[6:7], 0x0
	global_load_b32 v3, v[4:5], off
	s_wait_loadcnt 0x3
	v_lshrrev_b32_e32 v1, 16, v6
	v_mul_f16_e32 v7, v8, v6
	s_delay_alu instid0(VALU_DEP_1) | instskip(SKIP_1) | instid1(VALU_DEP_1)
	v_fma_f16 v7, v13, v1, -v7
	v_mul_f16_e32 v1, v8, v1
	v_fmac_f16_e32 v1, v13, v6
	s_wait_loadcnt 0x1
	v_lshrrev_b32_e32 v6, 16, v0
	v_mul_f16_e32 v8, v11, v0
	s_delay_alu instid0(VALU_DEP_1) | instskip(SKIP_1) | instid1(VALU_DEP_1)
	v_fma_f16 v8, v10, v6, -v8
	v_mul_f16_e32 v6, v11, v6
	v_fmac_f16_e32 v6, v10, v0
	v_pack_b32_f16 v0, v1, v7
	v_lshrrev_b32_e32 v7, 16, v20
	s_delay_alu instid0(VALU_DEP_3)
	v_pack_b32_f16 v1, v6, v8
	v_lshrrev_b32_e32 v6, 16, v12
	scratch_store_b32 off, v7, off offset:16 ; 4-byte Folded Spill
	ds_store_2addr_b32 v36, v0, v1 offset0:43 offset1:106
	v_add_co_u32 v0, vcc_lo, v4, s2
	s_wait_alu 0xfffd
	v_add_co_ci_u32_e32 v1, vcc_lo, s3, v5, vcc_lo
	v_lshrrev_b32_e32 v4, 16, v2
	v_mul_f16_e32 v5, v6, v2
	scratch_store_b32 off, v6, off offset:32 ; 4-byte Folded Spill
	global_load_b32 v0, v[0:1], off
	v_cmp_gt_u16_e32 vcc_lo, 9, v29
	v_fma_f16 v5, v12, v4, -v5
	v_mul_f16_e32 v4, v6, v4
	s_wait_loadcnt 0x1
	v_mul_f16_e32 v6, v7, v3
	s_delay_alu instid0(VALU_DEP_2) | instskip(SKIP_1) | instid1(VALU_DEP_1)
	v_fmac_f16_e32 v4, v12, v2
	v_lshrrev_b32_e32 v2, 16, v3
	v_fma_f16 v6, v20, v2, -v6
	v_mul_f16_e32 v2, v7, v2
	s_delay_alu instid0(VALU_DEP_1) | instskip(SKIP_1) | instid1(VALU_DEP_2)
	v_fmac_f16_e32 v2, v20, v3
	v_pack_b32_f16 v3, v4, v5
	v_pack_b32_f16 v2, v2, v6
	ds_store_2addr_b32 v69, v3, v2 offset0:118 offset1:181
	v_lshrrev_b32_e32 v3, 16, v9
	s_clause 0x4
	scratch_store_b32 off, v20, off offset:4
	scratch_store_b32 off, v10, off offset:12
	;; [unrolled: 1-line block ×5, first 2 shown]
	s_wait_loadcnt 0x0
	v_lshrrev_b32_e32 v1, 16, v0
	v_mul_f16_e32 v2, v3, v0
	s_delay_alu instid0(VALU_DEP_1) | instskip(SKIP_1) | instid1(VALU_DEP_1)
	v_fma_f16 v2, v9, v1, -v2
	v_mul_f16_e32 v1, v3, v1
	v_fmac_f16_e32 v1, v9, v0
	s_delay_alu instid0(VALU_DEP_1)
	v_pack_b32_f16 v0, v1, v2
	ds_store_b32 v93, v0 offset:5796
	global_wb scope:SCOPE_SE
	s_wait_storecnt_dscnt 0x0
	s_wait_kmcnt 0x0
	s_barrier_signal -1
	s_barrier_wait -1
	global_inv scope:SCOPE_SE
	ds_load_2addr_b32 v[2:3], v93 offset1:63
	ds_load_2addr_b32 v[0:1], v76 offset0:116 offset1:179
	s_wait_dscnt 0x0
	v_pk_add_f16 v25, v2, v0 neg_lo:[0,1] neg_hi:[0,1]
	v_pk_add_f16 v1, v3, v1 neg_lo:[0,1] neg_hi:[0,1]
	s_delay_alu instid0(VALU_DEP_2) | instskip(NEXT) | instid1(VALU_DEP_2)
	v_pk_fma_f16 v24, v2, 2.0, v25 op_sel_hi:[1,0,1] neg_lo:[0,0,1] neg_hi:[0,0,1]
	v_pk_fma_f16 v0, v3, 2.0, v1 op_sel_hi:[1,0,1] neg_lo:[0,0,1] neg_hi:[0,0,1]
	ds_load_2addr_b32 v[2:3], v93 offset0:126 offset1:189
	ds_load_2addr_b32 v[4:5], v30 offset0:114 offset1:177
	s_wait_dscnt 0x0
	v_pk_add_f16 v9, v2, v4 neg_lo:[0,1] neg_hi:[0,1]
	v_pk_add_f16 v5, v3, v5 neg_lo:[0,1] neg_hi:[0,1]
	s_delay_alu instid0(VALU_DEP_2) | instskip(NEXT) | instid1(VALU_DEP_2)
	v_pk_fma_f16 v8, v2, 2.0, v9 op_sel_hi:[1,0,1] neg_lo:[0,0,1] neg_hi:[0,0,1]
	v_pk_fma_f16 v4, v3, 2.0, v5 op_sel_hi:[1,0,1] neg_lo:[0,0,1] neg_hi:[0,0,1]
	ds_load_2addr_b32 v[2:3], v70 offset0:124 offset1:187
	;; [unrolled: 8-line block ×4, first 2 shown]
	ds_load_2addr_b32 v[14:15], v71 offset0:108 offset1:171
	ds_load_2addr_b32 v[2:3], v69 offset0:118 offset1:181
	;; [unrolled: 1-line block ×3, first 2 shown]
	global_wb scope:SCOPE_SE
	s_wait_dscnt 0x0
	s_barrier_signal -1
	s_barrier_wait -1
	global_inv scope:SCOPE_SE
	ds_store_b64 v104, v[24:25]
	v_add_co_u32 v24, s2, v128, 63
	s_wait_alu 0xf1ff
	v_add_co_ci_u32_e64 v26, null, 0, 0, s2
	s_delay_alu instid0(VALU_DEP_2)
	v_lshlrev_b32_e32 v25, 3, v24
	v_and_b32_e32 v40, 1, v24
	v_and_b32_e32 v50, 3, v24
	scratch_store_b32 off, v25, off offset:288 ; 4-byte Folded Spill
	ds_store_b64 v25, v[0:1]
	v_add_co_u32 v25, null, 0x7e, v128
	v_pk_add_f16 v1, v10, v14 neg_lo:[0,1] neg_hi:[0,1]
	v_pk_add_f16 v7, v3, v7 neg_lo:[0,1] neg_hi:[0,1]
	s_delay_alu instid0(VALU_DEP_3)
	v_lshlrev_b32_e32 v0, 3, v25
	v_and_b32_e32 v54, 3, v25
	scratch_store_b32 off, v0, off offset:284 ; 4-byte Folded Spill
	ds_store_b64 v0, v[8:9]
	v_lshlrev_b32_e32 v0, 3, v237
	v_add_co_u32 v9, null, 0xfc, v128
	v_add_co_u32 v8, null, 0x13b, v128
	scratch_store_b32 off, v0, off offset:280 ; 4-byte Folded Spill
	ds_store_b64 v0, v[4:5]
	v_lshlrev_b32_e32 v0, 3, v9
	v_add_co_u32 v5, null, 0x17a, v128
	v_add_co_u32 v4, null, 0x1b9, v128
	scratch_store_b32 off, v0, off offset:276 ; 4-byte Folded Spill
	ds_store_b64 v0, v[19:20]
	v_lshlrev_b32_e32 v0, 3, v8
	v_and_b32_e32 v43, 1, v8
	v_and_b32_e32 v44, 1, v4
	v_lshlrev_b32_e32 v47, 1, v9
	v_lshlrev_b32_e32 v48, 1, v8
	scratch_store_b32 off, v0, off offset:272 ; 4-byte Folded Spill
	ds_store_b64 v0, v[12:13]
	v_lshlrev_b32_e32 v0, 3, v5
	v_lshlrev_b32_e32 v49, 1, v4
	v_and_b32_e32 v56, 3, v8
	v_and_b32_e32 v89, 0xffff, v9
	;; [unrolled: 1-line block ×3, first 2 shown]
	scratch_store_b32 off, v0, off offset:268 ; 4-byte Folded Spill
	ds_store_b64 v0, v[21:22]
	v_lshlrev_b32_e32 v0, 3, v4
	v_and_b32_e32 v96, 0xffff, v5
	v_and_b32_e32 v101, 0xffff, v4
	scratch_store_b32 off, v0, off offset:264 ; 4-byte Folded Spill
	ds_store_b64 v0, v[17:18]
	v_pk_fma_f16 v0, v10, 2.0, v1 op_sel_hi:[1,0,1] neg_lo:[0,0,1] neg_hi:[0,0,1]
	v_lshlrev_b32_e32 v10, 2, v28
	ds_store_b64 v10, v[0:1] offset:4032
	v_pk_add_f16 v1, v11, v15 neg_lo:[0,1] neg_hi:[0,1]
	s_delay_alu instid0(VALU_DEP_1) | instskip(SKIP_2) | instid1(VALU_DEP_2)
	v_pk_fma_f16 v0, v11, 2.0, v1 op_sel_hi:[1,0,1] neg_lo:[0,0,1] neg_hi:[0,0,1]
	v_pk_add_f16 v11, v2, v6 neg_lo:[0,1] neg_hi:[0,1]
	v_pk_fma_f16 v6, v3, 2.0, v7 op_sel_hi:[1,0,1] neg_lo:[0,0,1] neg_hi:[0,0,1]
	v_pk_fma_f16 v10, v2, 2.0, v11 op_sel_hi:[1,0,1] neg_lo:[0,0,1] neg_hi:[0,0,1]
	v_add_nc_u32_e32 v2, 0x1000, v104
	ds_store_2addr_b64 v2, v[0:1], v[10:11] offset0:55 offset1:118
	v_add_co_u32 v0, s2, v128, -9
	s_wait_alu 0xf1ff
	v_add_co_ci_u32_e64 v1, null, 0, -1, s2
	ds_store_b64 v104, v[6:7] offset:5544
	s_wait_alu 0xfffd
	v_cndmask_b32_e32 v0, v0, v24, vcc_lo
	global_wb scope:SCOPE_SE
	s_wait_storecnt_dscnt 0x0
	v_cndmask_b32_e32 v1, v1, v26, vcc_lo
	v_cmp_lt_u16_e32 vcc_lo, 8, v29
	s_barrier_signal -1
	s_barrier_wait -1
	global_inv scope:SCOPE_SE
	s_wait_alu 0xfffd
	v_cndmask_b32_e64 v2, 0, 0xd8, vcc_lo
	s_delay_alu instid0(VALU_DEP_1)
	v_add_lshl_u32 v97, v0, v2, 2
	v_lshlrev_b32_e32 v2, 2, v39
	v_lshlrev_b64_e32 v[0:1], 3, v[0:1]
	global_load_b32 v200, v2, s[10:11]
	v_lshlrev_b32_e32 v2, 2, v40
	v_add_co_u32 v0, vcc_lo, s10, v0
	s_wait_alu 0xfffd
	v_add_co_ci_u32_e32 v1, vcc_lo, s11, v1, vcc_lo
	global_load_u16 v247, v2, s[10:11]
	v_lshlrev_b32_e32 v2, 2, v41
	s_clause 0x1
	global_load_b32 v204, v2, s[10:11]
	global_load_u16 v205, v2, s[10:11] offset:2
	ds_load_2addr_b32 v[2:3], v76 offset0:116 offset1:179
	v_cmp_gt_u16_e32 vcc_lo, 27, v29
	s_wait_dscnt 0x0
	v_lshrrev_b32_e32 v6, 16, v2
	s_wait_loadcnt 0x3
	v_lshrrev_b32_e32 v208, 16, v200
	s_delay_alu instid0(VALU_DEP_1) | instskip(NEXT) | instid1(VALU_DEP_1)
	v_mul_f16_e64 v10, v2, v208
	v_fmac_f16_e64 v10, v6, v200
	v_mul_f16_e64 v6, v6, v208
	s_wait_loadcnt 0x1
	v_lshrrev_b32_e32 v102, 16, v204
	s_delay_alu instid0(VALU_DEP_2) | instskip(SKIP_4) | instid1(VALU_DEP_2)
	v_fma_f16 v2, v2, v200, -v6
	ds_load_2addr_b32 v[6:7], v93 offset1:63
	s_wait_dscnt 0x0
	v_lshrrev_b32_e32 v11, 16, v6
	v_sub_f16_e32 v2, v6, v2
	v_sub_f16_e32 v10, v11, v10
	s_delay_alu instid0(VALU_DEP_1) | instskip(SKIP_3) | instid1(VALU_DEP_2)
	v_pack_b32_f16 v42, v2, v10
	v_fma_f16 v2, v6, 2.0, -v2
	v_and_b32_e32 v6, 1, v237
	v_fma_f16 v11, v11, 2.0, -v10
	v_lshlrev_b32_e32 v10, 2, v6
	s_delay_alu instid0(VALU_DEP_2)
	v_pack_b32_f16 v2, v2, v11
	v_lshlrev_b32_e32 v11, 2, v43
	s_clause 0x3
	global_load_u16 v250, v10, s[10:11] offset:2
	global_load_u16 v243, v11, s[10:11]
	global_load_u16 v249, v10, s[10:11]
	global_load_u16 v245, v11, s[10:11] offset:2
	v_and_or_b32 v10, 0x7c, v28, v39
	s_delay_alu instid0(VALU_DEP_1)
	v_lshlrev_b32_e32 v46, 2, v10
	v_lshlrev_b32_e32 v10, 2, v44
	s_clause 0x1
	global_load_u16 v224, v10, s[10:11]
	global_load_u16 v225, v10, s[10:11] offset:2
	v_lshlrev_b32_e32 v10, 2, v45
	s_clause 0x1
	global_load_u16 v218, v10, s[10:11]
	global_load_u16 v219, v10, s[10:11] offset:2
	ds_load_2addr_b32 v[10:11], v93 offset0:126 offset1:189
	ds_load_2addr_b32 v[12:13], v30 offset0:114 offset1:177
	;; [unrolled: 1-line block ×10, first 2 shown]
	global_wb scope:SCOPE_SE
	s_wait_loadcnt_dscnt 0x0
	s_barrier_signal -1
	s_barrier_wait -1
	global_inv scope:SCOPE_SE
	ds_store_2addr_b32 v46, v2, v42 offset1:2
	v_lshrrev_b32_e32 v2, 16, v3
	s_delay_alu instid0(VALU_DEP_1) | instskip(NEXT) | instid1(VALU_DEP_1)
	v_mul_f16_e32 v42, v2, v102
	v_fma_f16 v42, v3, v247, -v42
	v_mul_f16_e32 v3, v3, v102
	s_delay_alu instid0(VALU_DEP_1) | instskip(NEXT) | instid1(VALU_DEP_3)
	v_fmac_f16_e64 v3, v2, v247
	v_sub_f16_e32 v2, v7, v42
	v_lshrrev_b32_e32 v42, 16, v7
	s_delay_alu instid0(VALU_DEP_2) | instskip(NEXT) | instid1(VALU_DEP_2)
	v_fma_f16 v7, v7, 2.0, -v2
	v_sub_f16_e32 v3, v42, v3
	s_delay_alu instid0(VALU_DEP_1) | instskip(SKIP_1) | instid1(VALU_DEP_2)
	v_fma_f16 v42, v42, 2.0, -v3
	v_pack_b32_f16 v2, v2, v3
	v_pack_b32_f16 v3, v7, v42
	v_lshlrev_b32_e32 v42, 1, v24
	s_delay_alu instid0(VALU_DEP_1) | instskip(SKIP_2) | instid1(VALU_DEP_3)
	v_and_or_b32 v7, 0xfc, v42, v40
	v_lshlrev_b32_e32 v40, 1, v25
	v_and_or_b32 v42, 0xf8, v42, v50
	v_lshlrev_b32_e32 v7, 2, v7
	scratch_store_b32 off, v46, off offset:216 ; 4-byte Folded Spill
	v_lshlrev_b32_e32 v46, 1, v237
	ds_store_2addr_b32 v7, v3, v2 offset1:2
	v_lshrrev_b32_e32 v2, 16, v12
	v_mul_f16_e64 v3, v12, v208
	v_and_or_b32 v6, 0x1fc, v46, v6
	s_delay_alu instid0(VALU_DEP_2) | instskip(SKIP_1) | instid1(VALU_DEP_3)
	v_fmac_f16_e64 v3, v2, v200
	v_mul_f16_e64 v2, v2, v208
	v_lshlrev_b32_e32 v6, 2, v6
	scratch_store_b32 off, v7, off offset:220 ; 4-byte Folded Spill
	v_lshrrev_b32_e32 v7, 16, v10
	v_fma_f16 v2, v12, v200, -v2
	scratch_store_b32 off, v6, off offset:228 ; 4-byte Folded Spill
	v_sub_f16_e32 v3, v7, v3
	v_sub_f16_e32 v2, v10, v2
	s_delay_alu instid0(VALU_DEP_2) | instskip(NEXT) | instid1(VALU_DEP_2)
	v_fma_f16 v7, v7, 2.0, -v3
	v_pack_b32_f16 v3, v2, v3
	v_fma_f16 v2, v10, 2.0, -v2
	s_delay_alu instid0(VALU_DEP_1) | instskip(SKIP_1) | instid1(VALU_DEP_1)
	v_pack_b32_f16 v2, v2, v7
	v_and_or_b32 v7, 0x1fc, v40, v39
	v_lshlrev_b32_e32 v7, 2, v7
	ds_store_2addr_b32 v7, v2, v3 offset1:2
	v_lshrrev_b32_e32 v2, 16, v13
	scratch_store_b32 off, v7, off offset:224 ; 4-byte Folded Spill
	v_mul_f16_e64 v3, v2, v250
	v_mul_f16_e64 v7, v13, v250
	s_delay_alu instid0(VALU_DEP_2) | instskip(NEXT) | instid1(VALU_DEP_2)
	v_fma_f16 v3, v13, v249, -v3
	v_fmac_f16_e64 v7, v2, v249
	s_delay_alu instid0(VALU_DEP_2) | instskip(SKIP_1) | instid1(VALU_DEP_2)
	v_sub_f16_e32 v2, v11, v3
	v_lshrrev_b32_e32 v3, 16, v11
	v_fma_f16 v10, v11, 2.0, -v2
	s_delay_alu instid0(VALU_DEP_2) | instskip(NEXT) | instid1(VALU_DEP_1)
	v_sub_f16_e32 v7, v3, v7
	v_fma_f16 v3, v3, 2.0, -v7
	v_pack_b32_f16 v2, v2, v7
	s_delay_alu instid0(VALU_DEP_2)
	v_pack_b32_f16 v3, v10, v3
	v_lshlrev_b32_e32 v10, 2, v53
	ds_store_2addr_b32 v6, v3, v2 offset1:2
	v_lshrrev_b32_e32 v2, 16, v17
	v_mul_f16_e64 v3, v17, v208
	v_lshrrev_b32_e32 v6, 16, v14
	s_delay_alu instid0(VALU_DEP_2) | instskip(SKIP_1) | instid1(VALU_DEP_2)
	v_fmac_f16_e64 v3, v2, v200
	v_mul_f16_e64 v2, v2, v208
	v_sub_f16_e32 v3, v6, v3
	s_delay_alu instid0(VALU_DEP_2) | instskip(NEXT) | instid1(VALU_DEP_2)
	v_fma_f16 v2, v17, v200, -v2
	v_fma_f16 v6, v6, 2.0, -v3
	s_delay_alu instid0(VALU_DEP_2) | instskip(NEXT) | instid1(VALU_DEP_1)
	v_sub_f16_e32 v2, v14, v2
	v_pack_b32_f16 v3, v2, v3
	v_fma_f16 v2, v14, 2.0, -v2
	s_delay_alu instid0(VALU_DEP_1) | instskip(SKIP_1) | instid1(VALU_DEP_1)
	v_pack_b32_f16 v2, v2, v6
	v_and_or_b32 v6, 0x3fc, v47, v39
	v_lshlrev_b32_e32 v6, 2, v6
	ds_store_2addr_b32 v6, v2, v3 offset1:2
	v_lshrrev_b32_e32 v2, 16, v18
	scratch_store_b32 off, v6, off offset:232 ; 4-byte Folded Spill
	v_mul_f16_e64 v6, v18, v245
	v_mul_f16_e64 v3, v2, v245
	s_delay_alu instid0(VALU_DEP_2) | instskip(NEXT) | instid1(VALU_DEP_2)
	v_fmac_f16_e64 v6, v2, v243
	v_fma_f16 v3, v18, v243, -v3
	s_delay_alu instid0(VALU_DEP_1) | instskip(SKIP_1) | instid1(VALU_DEP_2)
	v_sub_f16_e32 v2, v15, v3
	v_lshrrev_b32_e32 v3, 16, v15
	v_fma_f16 v7, v15, 2.0, -v2
	s_delay_alu instid0(VALU_DEP_2) | instskip(NEXT) | instid1(VALU_DEP_1)
	v_sub_f16_e32 v6, v3, v6
	v_fma_f16 v3, v3, 2.0, -v6
	v_pack_b32_f16 v2, v2, v6
	v_and_or_b32 v6, 0x2fc, v48, v43
	v_lshlrev_b32_e32 v43, 1, v5
	s_delay_alu instid0(VALU_DEP_4) | instskip(NEXT) | instid1(VALU_DEP_3)
	v_pack_b32_f16 v3, v7, v3
	v_lshlrev_b32_e32 v6, 2, v6
	ds_store_2addr_b32 v6, v3, v2 offset1:2
	v_lshrrev_b32_e32 v2, 16, v21
	v_mul_f16_e64 v3, v21, v208
	scratch_store_b32 off, v6, off offset:236 ; 4-byte Folded Spill
	v_lshrrev_b32_e32 v6, 16, v19
	v_fmac_f16_e64 v3, v2, v200
	v_mul_f16_e64 v2, v2, v208
	s_delay_alu instid0(VALU_DEP_2) | instskip(NEXT) | instid1(VALU_DEP_2)
	v_sub_f16_e32 v3, v6, v3
	v_fma_f16 v2, v21, v200, -v2
	s_delay_alu instid0(VALU_DEP_2) | instskip(NEXT) | instid1(VALU_DEP_2)
	v_fma_f16 v6, v6, 2.0, -v3
	v_sub_f16_e32 v2, v19, v2
	s_delay_alu instid0(VALU_DEP_1) | instskip(SKIP_1) | instid1(VALU_DEP_1)
	v_pack_b32_f16 v3, v2, v3
	v_fma_f16 v2, v19, 2.0, -v2
	v_pack_b32_f16 v2, v2, v6
	v_and_or_b32 v6, 0x3fc, v43, v39
	s_delay_alu instid0(VALU_DEP_1)
	v_lshlrev_b32_e32 v6, 2, v6
	ds_store_2addr_b32 v6, v2, v3 offset1:2
	v_lshrrev_b32_e32 v2, 16, v22
	scratch_store_b32 off, v6, off offset:240 ; 4-byte Folded Spill
	v_mul_f16_e64 v6, v22, v225
	v_mul_f16_e64 v3, v2, v225
	s_delay_alu instid0(VALU_DEP_2) | instskip(NEXT) | instid1(VALU_DEP_2)
	v_fmac_f16_e64 v6, v2, v224
	v_fma_f16 v3, v22, v224, -v3
	s_delay_alu instid0(VALU_DEP_1) | instskip(SKIP_1) | instid1(VALU_DEP_2)
	v_sub_f16_e32 v2, v20, v3
	v_lshrrev_b32_e32 v3, 16, v20
	v_fma_f16 v7, v20, 2.0, -v2
	s_delay_alu instid0(VALU_DEP_2) | instskip(NEXT) | instid1(VALU_DEP_1)
	v_sub_f16_e32 v6, v3, v6
	v_fma_f16 v3, v3, 2.0, -v6
	v_pack_b32_f16 v2, v2, v6
	v_and_or_b32 v6, 0x3fc, v49, v44
	v_lshlrev_b32_e32 v44, 1, v235
	s_delay_alu instid0(VALU_DEP_4) | instskip(NEXT) | instid1(VALU_DEP_3)
	v_pack_b32_f16 v3, v7, v3
	v_lshlrev_b32_e32 v6, 2, v6
	ds_store_2addr_b32 v6, v3, v2 offset1:2
	v_lshrrev_b32_e32 v2, 16, v31
	v_mul_f16_e64 v3, v31, v208
	scratch_store_b32 off, v6, off offset:244 ; 4-byte Folded Spill
	v_lshrrev_b32_e32 v6, 16, v26
	v_fmac_f16_e64 v3, v2, v200
	v_mul_f16_e64 v2, v2, v208
	s_delay_alu instid0(VALU_DEP_2) | instskip(NEXT) | instid1(VALU_DEP_2)
	v_sub_f16_e32 v3, v6, v3
	v_fma_f16 v2, v31, v200, -v2
	s_delay_alu instid0(VALU_DEP_2) | instskip(NEXT) | instid1(VALU_DEP_2)
	v_fma_f16 v6, v6, 2.0, -v3
	v_sub_f16_e32 v2, v26, v2
	s_delay_alu instid0(VALU_DEP_1) | instskip(SKIP_1) | instid1(VALU_DEP_1)
	v_pack_b32_f16 v3, v2, v3
	v_fma_f16 v2, v26, 2.0, -v2
	v_pack_b32_f16 v2, v2, v6
	v_and_or_b32 v6, 0x7fc, v107, v39
	s_delay_alu instid0(VALU_DEP_1)
	v_lshlrev_b32_e32 v6, 2, v6
	ds_store_2addr_b32 v6, v2, v3 offset1:2
	v_lshrrev_b32_e32 v2, 16, v32
	scratch_store_b32 off, v6, off offset:248 ; 4-byte Folded Spill
	v_mul_f16_e64 v6, v32, v219
	v_mul_f16_e64 v3, v2, v219
	s_delay_alu instid0(VALU_DEP_2) | instskip(NEXT) | instid1(VALU_DEP_2)
	v_fmac_f16_e64 v6, v2, v218
	v_fma_f16 v3, v32, v218, -v3
	s_delay_alu instid0(VALU_DEP_1) | instskip(SKIP_1) | instid1(VALU_DEP_2)
	v_sub_f16_e32 v2, v27, v3
	v_lshrrev_b32_e32 v3, 16, v27
	v_fma_f16 v7, v27, 2.0, -v2
	s_delay_alu instid0(VALU_DEP_2) | instskip(NEXT) | instid1(VALU_DEP_1)
	v_sub_f16_e32 v6, v3, v6
	v_fma_f16 v3, v3, 2.0, -v6
	v_pack_b32_f16 v2, v2, v6
	v_and_or_b32 v6, 0x4fc, v44, v45
	v_lshlrev_b32_e32 v45, 1, v112
	s_delay_alu instid0(VALU_DEP_4) | instskip(NEXT) | instid1(VALU_DEP_3)
	v_pack_b32_f16 v3, v7, v3
	v_lshlrev_b32_e32 v6, 2, v6
	ds_store_2addr_b32 v6, v3, v2 offset1:2
	v_lshrrev_b32_e32 v2, 16, v37
	v_mul_f16_e64 v3, v37, v208
	scratch_store_b32 off, v6, off offset:252 ; 4-byte Folded Spill
	v_lshrrev_b32_e32 v6, 16, v33
	v_fmac_f16_e64 v3, v2, v200
	v_mul_f16_e64 v2, v2, v208
	s_delay_alu instid0(VALU_DEP_2) | instskip(NEXT) | instid1(VALU_DEP_2)
	v_sub_f16_e32 v3, v6, v3
	v_fma_f16 v2, v37, v200, -v2
	s_delay_alu instid0(VALU_DEP_2) | instskip(NEXT) | instid1(VALU_DEP_2)
	v_fma_f16 v6, v6, 2.0, -v3
	v_sub_f16_e32 v2, v33, v2
	s_delay_alu instid0(VALU_DEP_1) | instskip(SKIP_1) | instid1(VALU_DEP_1)
	v_pack_b32_f16 v3, v2, v3
	v_fma_f16 v2, v33, 2.0, -v2
	v_pack_b32_f16 v2, v2, v6
	v_and_or_b32 v6, 0x5fc, v45, v39
	v_lshlrev_b32_e32 v39, 1, v230
	s_delay_alu instid0(VALU_DEP_2)
	v_lshlrev_b32_e32 v6, 2, v6
	ds_store_2addr_b32 v6, v2, v3 offset1:2
	v_lshrrev_b32_e32 v2, 16, v38
	scratch_store_b32 off, v6, off offset:256 ; 4-byte Folded Spill
	v_mul_f16_e64 v6, v38, v205
	v_mul_f16_e64 v3, v2, v205
	s_delay_alu instid0(VALU_DEP_2) | instskip(NEXT) | instid1(VALU_DEP_2)
	v_fmac_f16_e64 v6, v2, v204
	v_fma_f16 v3, v38, v204, -v3
	s_delay_alu instid0(VALU_DEP_1) | instskip(SKIP_1) | instid1(VALU_DEP_2)
	v_sub_f16_e32 v2, v34, v3
	v_lshrrev_b32_e32 v3, 16, v34
	v_fma_f16 v7, v34, 2.0, -v2
	s_delay_alu instid0(VALU_DEP_2) | instskip(NEXT) | instid1(VALU_DEP_1)
	v_sub_f16_e32 v6, v3, v6
	v_fma_f16 v3, v3, 2.0, -v6
	v_pack_b32_f16 v2, v2, v6
	v_and_or_b32 v6, 0x5fc, v39, v41
	v_and_b32_e32 v41, 3, v128
	s_delay_alu instid0(VALU_DEP_4) | instskip(NEXT) | instid1(VALU_DEP_3)
	v_pack_b32_f16 v3, v7, v3
	v_lshlrev_b32_e32 v6, 2, v6
	ds_store_2addr_b32 v6, v3, v2 offset1:2
	v_lshlrev_b32_e32 v2, 2, v41
	scratch_store_b32 off, v6, off offset:260 ; 4-byte Folded Spill
	global_wb scope:SCOPE_SE
	s_wait_storecnt_dscnt 0x0
	s_barrier_signal -1
	s_barrier_wait -1
	global_inv scope:SCOPE_SE
	global_load_b32 v178, v2, s[10:11] offset:8
	v_lshlrev_b32_e32 v2, 2, v50
	global_load_u16 v209, v2, s[10:11] offset:8
	v_lshlrev_b32_e32 v2, 2, v51
	s_clause 0x1
	global_load_b32 v183, v2, s[10:11] offset:8
	global_load_u16 v185, v2, s[10:11] offset:10
	v_lshlrev_b32_e32 v2, 2, v52
	global_load_u16 v203, v2, s[10:11] offset:8
	v_lshlrev_b32_e32 v2, 2, v54
	s_clause 0x1
	global_load_u16 v184, v10, s[10:11] offset:10
	global_load_u16 v212, v2, s[10:11] offset:8
	ds_load_2addr_b32 v[2:3], v76 offset0:116 offset1:179
	global_load_b32 v186, v10, s[10:11] offset:8
	s_wait_dscnt 0x0
	v_lshrrev_b32_e32 v6, 16, v2
	s_wait_loadcnt 0x7
	v_lshrrev_b32_e32 v189, 16, v178
	s_delay_alu instid0(VALU_DEP_1) | instskip(NEXT) | instid1(VALU_DEP_1)
	v_mul_f16_e64 v11, v2, v189
	v_fmac_f16_e64 v11, v6, v178
	v_mul_f16_e64 v6, v6, v189
	s_wait_loadcnt 0x5
	v_lshrrev_b32_e32 v236, 16, v183
	s_delay_alu instid0(VALU_DEP_2)
	v_fma_f16 v2, v2, v178, -v6
	ds_load_2addr_b32 v[6:7], v93 offset1:63
	s_wait_loadcnt 0x0
	v_lshrrev_b32_e32 v241, 16, v186
	s_wait_dscnt 0x0
	v_lshrrev_b32_e32 v12, 16, v6
	v_sub_f16_e32 v2, v6, v2
	v_lshrrev_b32_e32 v50, 16, v7
	s_delay_alu instid0(VALU_DEP_3) | instskip(NEXT) | instid1(VALU_DEP_1)
	v_sub_f16_e32 v11, v12, v11
	v_pack_b32_f16 v55, v2, v11
	v_fma_f16 v2, v6, 2.0, -v2
	v_and_or_b32 v6, 0x78, v28, v41
	v_and_b32_e32 v28, 3, v5
	v_fma_f16 v12, v12, 2.0, -v11
	s_delay_alu instid0(VALU_DEP_3) | instskip(SKIP_1) | instid1(VALU_DEP_3)
	v_lshlrev_b32_e32 v58, 2, v6
	v_and_b32_e32 v6, 3, v4
	v_pack_b32_f16 v2, v2, v12
	s_delay_alu instid0(VALU_DEP_2)
	v_lshlrev_b32_e32 v10, 2, v6
	s_clause 0x1
	global_load_u16 v198, v10, s[10:11] offset:8
	global_load_u16 v199, v10, s[10:11] offset:10
	v_lshlrev_b32_e32 v10, 2, v28
	s_clause 0x1
	global_load_u16 v202, v10, s[10:11] offset:10
	global_load_u16 v201, v10, s[10:11] offset:8
	v_lshlrev_b32_e32 v10, 2, v56
	s_clause 0x1
	global_load_u16 v207, v10, s[10:11] offset:10
	global_load_u16 v206, v10, s[10:11] offset:8
	v_lshlrev_b32_e32 v10, 2, v57
	s_clause 0x1
	global_load_b32 v187, v10, s[10:11] offset:8
	global_load_u16 v188, v10, s[10:11] offset:10
	ds_load_2addr_b32 v[10:11], v93 offset0:126 offset1:189
	ds_load_2addr_b32 v[12:13], v30 offset0:114 offset1:177
	;; [unrolled: 1-line block ×10, first 2 shown]
	global_wb scope:SCOPE_SE
	s_wait_loadcnt_dscnt 0x0
	s_barrier_signal -1
	s_barrier_wait -1
	global_inv scope:SCOPE_SE
	ds_store_2addr_b32 v58, v2, v55 offset1:4
	v_lshrrev_b32_e32 v2, 16, v3
	v_and_or_b32 v6, 0x3f8, v49, v6
	v_and_b32_e32 v49, 7, v8
	s_delay_alu instid0(VALU_DEP_3) | instskip(NEXT) | instid1(VALU_DEP_3)
	v_mul_f16_e64 v55, v2, v236
	v_lshlrev_b32_e32 v6, 2, v6
	scratch_store_b32 off, v58, off offset:168 ; 4-byte Folded Spill
	v_fma_f16 v55, v3, v209, -v55
	scratch_store_b32 off, v6, off offset:172 ; 4-byte Folded Spill
	v_mul_f16_e64 v3, v3, v236
	s_delay_alu instid0(VALU_DEP_1) | instskip(SKIP_1) | instid1(VALU_DEP_2)
	v_fmac_f16_e64 v3, v2, v209
	v_sub_f16_e32 v2, v7, v55
	v_sub_f16_e32 v3, v50, v3
	s_delay_alu instid0(VALU_DEP_2) | instskip(NEXT) | instid1(VALU_DEP_2)
	v_fma_f16 v7, v7, 2.0, -v2
	v_fma_f16 v50, v50, 2.0, -v3
	v_pack_b32_f16 v2, v2, v3
	s_delay_alu instid0(VALU_DEP_2)
	v_pack_b32_f16 v3, v7, v50
	v_lshlrev_b32_e32 v7, 2, v42
	v_and_b32_e32 v50, 7, v5
	ds_store_2addr_b32 v7, v3, v2 offset1:4
	v_and_or_b32 v2, 0x1f8, v40, v54
	v_lshrrev_b32_e32 v3, 16, v12
	s_delay_alu instid0(VALU_DEP_2)
	v_lshlrev_b32_e32 v2, 2, v2
	scratch_store_b32 off, v7, off offset:208 ; 4-byte Folded Spill
	v_mul_f16_e64 v7, v12, v241
	scratch_store_b32 off, v2, off offset:176 ; 4-byte Folded Spill
	v_fmac_f16_e64 v7, v3, v212
	v_mul_f16_e64 v3, v3, v241
	s_delay_alu instid0(VALU_DEP_1) | instskip(SKIP_1) | instid1(VALU_DEP_2)
	v_fma_f16 v3, v12, v212, -v3
	v_lshrrev_b32_e32 v12, 16, v10
	v_sub_f16_e32 v3, v10, v3
	s_delay_alu instid0(VALU_DEP_2) | instskip(NEXT) | instid1(VALU_DEP_1)
	v_sub_f16_e32 v7, v12, v7
	v_fma_f16 v12, v12, 2.0, -v7
	s_delay_alu instid0(VALU_DEP_3) | instskip(SKIP_2) | instid1(VALU_DEP_2)
	v_pack_b32_f16 v7, v3, v7
	v_fma_f16 v3, v10, 2.0, -v3
	v_and_or_b32 v10, 0x1f8, v46, v52
	v_pack_b32_f16 v3, v3, v12
	ds_store_2addr_b32 v2, v3, v7 offset1:4
	v_lshrrev_b32_e32 v2, 16, v13
	v_lshrrev_b32_e32 v228, 16, v187
	s_delay_alu instid0(VALU_DEP_1) | instskip(SKIP_1) | instid1(VALU_DEP_2)
	v_mul_f16_e64 v3, v2, v228
	v_mul_f16_e64 v7, v13, v228
	v_fma_f16 v3, v13, v203, -v3
	s_delay_alu instid0(VALU_DEP_2) | instskip(NEXT) | instid1(VALU_DEP_2)
	v_fmac_f16_e64 v7, v2, v203
	v_sub_f16_e32 v2, v11, v3
	v_lshrrev_b32_e32 v3, 16, v11
	s_delay_alu instid0(VALU_DEP_2) | instskip(NEXT) | instid1(VALU_DEP_2)
	v_fma_f16 v11, v11, 2.0, -v2
	v_sub_f16_e32 v7, v3, v7
	s_delay_alu instid0(VALU_DEP_1)
	v_fma_f16 v3, v3, 2.0, -v7
	v_pack_b32_f16 v2, v2, v7
	v_lshlrev_b32_e32 v7, 2, v10
	v_and_or_b32 v10, 0x2f8, v48, v56
	v_and_b32_e32 v48, 7, v9
	v_pack_b32_f16 v3, v11, v3
	scratch_store_b32 off, v7, off offset:184 ; 4-byte Folded Spill
	ds_store_2addr_b32 v7, v3, v2 offset1:4
	v_lshrrev_b32_e32 v2, 16, v17
	v_mul_f16_e64 v3, v17, v189
	v_lshrrev_b32_e32 v7, 16, v14
	s_delay_alu instid0(VALU_DEP_2) | instskip(SKIP_1) | instid1(VALU_DEP_2)
	v_fmac_f16_e64 v3, v2, v178
	v_mul_f16_e64 v2, v2, v189
	v_sub_f16_e32 v3, v7, v3
	s_delay_alu instid0(VALU_DEP_2) | instskip(NEXT) | instid1(VALU_DEP_2)
	v_fma_f16 v2, v17, v178, -v2
	v_fma_f16 v7, v7, 2.0, -v3
	s_delay_alu instid0(VALU_DEP_2) | instskip(NEXT) | instid1(VALU_DEP_1)
	v_sub_f16_e32 v2, v14, v2
	v_pack_b32_f16 v3, v2, v3
	v_fma_f16 v2, v14, 2.0, -v2
	s_delay_alu instid0(VALU_DEP_1) | instskip(SKIP_1) | instid1(VALU_DEP_1)
	v_pack_b32_f16 v2, v2, v7
	v_and_or_b32 v7, 0x3f8, v47, v41
	v_lshlrev_b32_e32 v7, 2, v7
	ds_store_2addr_b32 v7, v2, v3 offset1:4
	v_lshrrev_b32_e32 v2, 16, v18
	scratch_store_b32 off, v7, off offset:192 ; 4-byte Folded Spill
	v_mul_f16_e64 v7, v18, v207
	v_mul_f16_e64 v3, v2, v207
	s_delay_alu instid0(VALU_DEP_2) | instskip(NEXT) | instid1(VALU_DEP_2)
	v_fmac_f16_e64 v7, v2, v206
	v_fma_f16 v3, v18, v206, -v3
	s_delay_alu instid0(VALU_DEP_1) | instskip(SKIP_1) | instid1(VALU_DEP_2)
	v_sub_f16_e32 v2, v15, v3
	v_lshrrev_b32_e32 v3, 16, v15
	v_fma_f16 v11, v15, 2.0, -v2
	s_delay_alu instid0(VALU_DEP_2) | instskip(NEXT) | instid1(VALU_DEP_1)
	v_sub_f16_e32 v7, v3, v7
	v_fma_f16 v3, v3, 2.0, -v7
	v_pack_b32_f16 v2, v2, v7
	v_lshlrev_b32_e32 v7, 2, v10
	v_lshrrev_b32_e32 v10, 16, v19
	s_delay_alu instid0(VALU_DEP_4) | instskip(SKIP_4) | instid1(VALU_DEP_3)
	v_pack_b32_f16 v3, v11, v3
	ds_store_2addr_b32 v7, v3, v2 offset1:4
	v_and_or_b32 v2, 0x3f8, v43, v28
	v_lshrrev_b32_e32 v3, 16, v21
	v_and_b32_e32 v28, 7, v24
	v_lshlrev_b32_e32 v2, 2, v2
	scratch_store_b32 off, v7, off offset:200 ; 4-byte Folded Spill
	v_mul_f16_e64 v7, v21, v202
	scratch_store_b32 off, v2, off offset:212 ; 4-byte Folded Spill
	v_fmac_f16_e64 v7, v3, v201
	v_mul_f16_e64 v3, v3, v202
	s_delay_alu instid0(VALU_DEP_2) | instskip(NEXT) | instid1(VALU_DEP_2)
	v_sub_f16_e32 v7, v10, v7
	v_fma_f16 v3, v21, v201, -v3
	s_delay_alu instid0(VALU_DEP_2) | instskip(NEXT) | instid1(VALU_DEP_2)
	v_fma_f16 v10, v10, 2.0, -v7
	v_sub_f16_e32 v3, v19, v3
	s_delay_alu instid0(VALU_DEP_1) | instskip(SKIP_1) | instid1(VALU_DEP_1)
	v_pack_b32_f16 v7, v3, v7
	v_fma_f16 v3, v19, 2.0, -v3
	v_pack_b32_f16 v3, v3, v10
	ds_store_2addr_b32 v2, v3, v7 offset1:4
	v_lshrrev_b32_e32 v2, 16, v22
	v_mul_f16_e64 v7, v22, v199
	s_delay_alu instid0(VALU_DEP_2) | instskip(NEXT) | instid1(VALU_DEP_2)
	v_mul_f16_e64 v3, v2, v199
	v_fmac_f16_e64 v7, v2, v198
	s_delay_alu instid0(VALU_DEP_2) | instskip(NEXT) | instid1(VALU_DEP_1)
	v_fma_f16 v3, v22, v198, -v3
	v_sub_f16_e32 v2, v20, v3
	v_lshrrev_b32_e32 v3, 16, v20
	s_delay_alu instid0(VALU_DEP_2) | instskip(NEXT) | instid1(VALU_DEP_2)
	v_fma_f16 v10, v20, 2.0, -v2
	v_sub_f16_e32 v7, v3, v7
	s_delay_alu instid0(VALU_DEP_1) | instskip(SKIP_3) | instid1(VALU_DEP_4)
	v_fma_f16 v3, v3, 2.0, -v7
	v_pack_b32_f16 v2, v2, v7
	v_and_or_b32 v7, 0x4f8, v44, v51
	v_and_b32_e32 v51, 7, v4
	v_pack_b32_f16 v3, v10, v3
	ds_store_2addr_b32 v6, v3, v2 offset1:4
	v_lshrrev_b32_e32 v2, 16, v31
	v_mul_f16_e64 v3, v31, v189
	v_lshrrev_b32_e32 v6, 16, v26
	s_delay_alu instid0(VALU_DEP_2) | instskip(SKIP_1) | instid1(VALU_DEP_2)
	v_fmac_f16_e64 v3, v2, v178
	v_mul_f16_e64 v2, v2, v189
	v_sub_f16_e32 v3, v6, v3
	s_delay_alu instid0(VALU_DEP_2) | instskip(SKIP_1) | instid1(VALU_DEP_3)
	v_fma_f16 v2, v31, v178, -v2
	v_and_b32_e32 v31, 7, v25
	v_fma_f16 v6, v6, 2.0, -v3
	s_delay_alu instid0(VALU_DEP_3) | instskip(NEXT) | instid1(VALU_DEP_1)
	v_sub_f16_e32 v2, v26, v2
	v_pack_b32_f16 v3, v2, v3
	v_fma_f16 v2, v26, 2.0, -v2
	s_delay_alu instid0(VALU_DEP_1) | instskip(SKIP_1) | instid1(VALU_DEP_1)
	v_pack_b32_f16 v2, v2, v6
	v_and_or_b32 v6, 0x7f8, v107, v41
	v_lshlrev_b32_e32 v6, 2, v6
	ds_store_2addr_b32 v6, v2, v3 offset1:4
	v_lshrrev_b32_e32 v2, 16, v32
	scratch_store_b32 off, v6, off offset:180 ; 4-byte Folded Spill
	v_mul_f16_e64 v6, v32, v185
	v_mul_f16_e64 v3, v2, v185
	s_delay_alu instid0(VALU_DEP_2) | instskip(NEXT) | instid1(VALU_DEP_2)
	v_fmac_f16_e64 v6, v2, v183
	v_fma_f16 v3, v32, v183, -v3
	v_and_b32_e32 v32, 7, v237
	s_delay_alu instid0(VALU_DEP_2) | instskip(SKIP_1) | instid1(VALU_DEP_2)
	v_sub_f16_e32 v2, v27, v3
	v_lshrrev_b32_e32 v3, 16, v27
	v_fma_f16 v10, v27, 2.0, -v2
	s_delay_alu instid0(VALU_DEP_2) | instskip(NEXT) | instid1(VALU_DEP_1)
	v_sub_f16_e32 v6, v3, v6
	v_fma_f16 v3, v3, 2.0, -v6
	v_pack_b32_f16 v2, v2, v6
	v_lshlrev_b32_e32 v6, 2, v7
	v_lshrrev_b32_e32 v7, 16, v33
	s_delay_alu instid0(VALU_DEP_4) | instskip(SKIP_3) | instid1(VALU_DEP_2)
	v_pack_b32_f16 v3, v10, v3
	ds_store_2addr_b32 v6, v3, v2 offset1:4
	v_and_or_b32 v2, 0x5f8, v45, v53
	v_lshrrev_b32_e32 v3, 16, v37
	v_lshlrev_b32_e32 v2, 2, v2
	scratch_store_b32 off, v6, off offset:188 ; 4-byte Folded Spill
	v_mul_f16_e64 v6, v37, v184
	scratch_store_b32 off, v2, off offset:196 ; 4-byte Folded Spill
	v_fmac_f16_e64 v6, v3, v186
	v_mul_f16_e64 v3, v3, v184
	s_delay_alu instid0(VALU_DEP_2) | instskip(NEXT) | instid1(VALU_DEP_2)
	v_sub_f16_e32 v6, v7, v6
	v_fma_f16 v3, v37, v186, -v3
	s_delay_alu instid0(VALU_DEP_2) | instskip(NEXT) | instid1(VALU_DEP_2)
	v_fma_f16 v7, v7, 2.0, -v6
	v_sub_f16_e32 v3, v33, v3
	s_delay_alu instid0(VALU_DEP_1) | instskip(SKIP_1) | instid1(VALU_DEP_1)
	v_pack_b32_f16 v6, v3, v6
	v_fma_f16 v3, v33, 2.0, -v3
	v_pack_b32_f16 v3, v3, v7
	v_and_or_b32 v7, 0x5f8, v39, v57
	ds_store_2addr_b32 v2, v3, v6 offset1:4
	v_lshrrev_b32_e32 v2, 16, v38
	v_mul_f16_e64 v6, v38, v188
	s_delay_alu instid0(VALU_DEP_2) | instskip(NEXT) | instid1(VALU_DEP_2)
	v_mul_f16_e64 v3, v2, v188
	v_fmac_f16_e64 v6, v2, v187
	s_delay_alu instid0(VALU_DEP_2) | instskip(NEXT) | instid1(VALU_DEP_1)
	v_fma_f16 v3, v38, v187, -v3
	v_sub_f16_e32 v2, v34, v3
	v_lshrrev_b32_e32 v3, 16, v34
	s_delay_alu instid0(VALU_DEP_2) | instskip(NEXT) | instid1(VALU_DEP_2)
	v_fma_f16 v10, v34, 2.0, -v2
	v_sub_f16_e32 v6, v3, v6
	s_delay_alu instid0(VALU_DEP_1) | instskip(SKIP_2) | instid1(VALU_DEP_3)
	v_fma_f16 v3, v3, 2.0, -v6
	v_pack_b32_f16 v2, v2, v6
	v_lshlrev_b32_e32 v6, 2, v7
	v_pack_b32_f16 v3, v10, v3
	scratch_store_b32 off, v6, off offset:204 ; 4-byte Folded Spill
	ds_store_2addr_b32 v6, v3, v2 offset1:4
	v_and_b32_e32 v6, 7, v128
	global_wb scope:SCOPE_SE
	s_wait_storecnt_dscnt 0x0
	s_barrier_signal -1
	s_barrier_wait -1
	global_inv scope:SCOPE_SE
	v_lshlrev_b32_e32 v2, 3, v6
	v_lshlrev_b32_e32 v3, 3, v32
	global_load_b64 v[55:56], v2, s[10:11] offset:24
	v_lshlrev_b32_e32 v2, 3, v28
	global_load_b64 v[53:54], v2, s[10:11] offset:24
	v_lshlrev_b32_e32 v2, 3, v31
	s_clause 0x1
	global_load_b64 v[63:64], v2, s[10:11] offset:24
	global_load_b64 v[59:60], v3, s[10:11] offset:24
	ds_load_2addr_b32 v[2:3], v23 offset0:120 offset1:183
	s_wait_dscnt 0x0
	v_lshrrev_b32_e32 v7, 16, v2
	v_lshrrev_b32_e32 v11, 16, v3
	s_wait_loadcnt 0x3
	v_lshrrev_b32_e32 v248, 16, v55
	v_lshrrev_b32_e32 v246, 16, v56
	s_delay_alu instid0(VALU_DEP_2)
	v_mul_f16_e64 v10, v7, v248
	s_wait_loadcnt 0x2
	v_lshrrev_b32_e32 v242, 16, v53
	v_mul_f16_e64 v13, v2, v248
	v_lshrrev_b32_e32 v244, 16, v54
	v_fma_f16 v10, v2, v55, -v10
	s_delay_alu instid0(VALU_DEP_4)
	v_mul_f16_e64 v12, v11, v242
	v_mul_f16_e64 v14, v3, v242
	v_fmac_f16_e32 v13, v7, v55
	s_wait_loadcnt 0x0
	v_lshrrev_b32_e32 v251, 16, v59
	v_lshrrev_b32_e32 v252, 16, v60
	v_fma_f16 v12, v3, v53, -v12
	ds_load_2addr_b32 v[2:3], v79 offset0:112 offset1:175
	v_fmac_f16_e32 v14, v11, v53
	v_lshrrev_b32_e32 v255, 16, v63
	v_lshrrev_b32_e32 v254, 16, v64
	s_wait_dscnt 0x0
	v_lshrrev_b32_e32 v15, 16, v2
	v_lshrrev_b32_e32 v18, 16, v3
	v_mul_f16_e64 v34, v3, v244
	s_delay_alu instid0(VALU_DEP_3) | instskip(NEXT) | instid1(VALU_DEP_3)
	v_mul_f16_e64 v17, v15, v246
	v_mul_f16_e64 v19, v18, v244
	s_delay_alu instid0(VALU_DEP_3) | instskip(NEXT) | instid1(VALU_DEP_3)
	v_fmac_f16_e32 v34, v18, v54
	v_fma_f16 v17, v2, v56, -v17
	s_delay_alu instid0(VALU_DEP_3)
	v_fma_f16 v33, v3, v54, -v19
	v_mul_f16_e64 v19, v2, v246
	ds_load_2addr_b32 v[2:3], v93 offset1:63
	v_sub_f16_e32 v44, v10, v17
	v_add_f16_e32 v11, v12, v33
	v_fmac_f16_e32 v19, v15, v56
	s_delay_alu instid0(VALU_DEP_1)
	v_add_f16_e32 v7, v13, v19
	v_sub_f16_e32 v45, v13, v19
	s_wait_dscnt 0x0
	v_lshrrev_b32_e32 v18, 16, v3
	v_add_f16_e32 v37, v3, v12
	v_fmac_f16_e32 v3, -0.5, v11
	v_add_f16_e32 v11, v14, v34
	v_lshrrev_b32_e32 v43, 16, v2
	v_add_f16_e32 v38, v18, v14
	s_delay_alu instid0(VALU_DEP_3) | instskip(SKIP_1) | instid1(VALU_DEP_3)
	v_fmac_f16_e32 v18, -0.5, v11
	v_sub_f16_e32 v11, v14, v34
	v_add_f16_e32 v34, v38, v34
	v_lshrrev_b32_e32 v38, 3, v24
	s_delay_alu instid0(VALU_DEP_3) | instskip(SKIP_2) | instid1(VALU_DEP_4)
	v_fmamk_f16 v39, v11, 0x3aee, v3
	v_fmac_f16_e32 v3, 0xbaee, v11
	v_sub_f16_e32 v11, v12, v33
	v_mul_u32_u24_e32 v38, 24, v38
	v_add_f16_e32 v33, v37, v33
	s_delay_alu instid0(VALU_DEP_3)
	v_fmamk_f16 v40, v11, 0xbaee, v18
	v_fmac_f16_e32 v18, 0x3aee, v11
	v_add_f16_e32 v11, v10, v17
	v_or_b32_e32 v28, v38, v28
	v_pack_b32_f16 v33, v33, v34
	v_pack_b32_f16 v34, v39, v40
	;; [unrolled: 1-line block ×3, first 2 shown]
	v_fma_f16 v41, -0.5, v11, v2
	v_add_f16_e32 v2, v2, v10
	v_add_f16_e32 v3, v43, v13
	v_fmac_f16_e32 v43, -0.5, v7
	v_lshrrev_b32_e32 v7, 3, v128
	s_delay_alu instid0(VALU_DEP_4) | instskip(NEXT) | instid1(VALU_DEP_4)
	v_add_f16_e32 v2, v2, v17
	v_add_f16_e32 v3, v3, v19
	s_delay_alu instid0(VALU_DEP_3) | instskip(NEXT) | instid1(VALU_DEP_2)
	v_mul_u32_u24_e32 v7, 24, v7
	v_pack_b32_f16 v46, v2, v3
	v_fmamk_f16 v2, v45, 0x3aee, v41
	v_fmamk_f16 v3, v44, 0xbaee, v43
	s_delay_alu instid0(VALU_DEP_4)
	v_or_b32_e32 v6, v7, v6
	v_fmac_f16_e32 v41, 0xbaee, v45
	v_fmac_f16_e32 v43, 0x3aee, v44
	v_lshlrev_b32_e32 v45, 2, v28
	v_pack_b32_f16 v47, v2, v3
	v_lshlrev_b32_e32 v2, 3, v48
	v_lshlrev_b32_e32 v3, 3, v51
	;; [unrolled: 1-line block ×3, first 2 shown]
	v_pack_b32_f16 v37, v41, v43
	global_load_b64 v[67:68], v2, s[10:11] offset:24
	v_lshlrev_b32_e32 v2, 3, v49
	global_load_b64 v[65:66], v2, s[10:11] offset:24
	v_lshlrev_b32_e32 v2, 3, v50
	s_clause 0x1
	global_load_b64 v[61:62], v2, s[10:11] offset:24
	global_load_b64 v[57:58], v3, s[10:11] offset:24
	ds_load_2addr_b32 v[2:3], v93 offset0:126 offset1:189
	ds_load_2addr_b32 v[6:7], v69 offset0:118 offset1:181
	;; [unrolled: 1-line block ×9, first 2 shown]
	global_wb scope:SCOPE_SE
	s_wait_loadcnt_dscnt 0x0
	s_barrier_signal -1
	s_barrier_wait -1
	global_inv scope:SCOPE_SE
	ds_store_2addr_b32 v52, v46, v47 offset1:8
	ds_store_b32 v52, v37 offset:64
	ds_store_2addr_b32 v45, v33, v34 offset1:8
	ds_store_b32 v45, v42 offset:64
	scratch_store_b32 off, v52, off offset:156 ; 4-byte Folded Spill
	v_lshrrev_b32_e32 v34, 16, v7
	v_lshrrev_b32_e32 v40, 16, v11
	v_lshrrev_b32_e32 v28, 16, v6
	v_lshrrev_b32_e32 v38, 16, v10
	s_delay_alu instid0(VALU_DEP_4) | instskip(NEXT) | instid1(VALU_DEP_4)
	v_mul_f16_e64 v37, v34, v251
	v_mul_f16_e64 v41, v40, v252
	s_delay_alu instid0(VALU_DEP_4) | instskip(NEXT) | instid1(VALU_DEP_4)
	v_mul_f16_e64 v33, v28, v255
	v_mul_f16_e64 v39, v38, v254
	s_delay_alu instid0(VALU_DEP_4)
	v_fma_f16 v37, v7, v59, -v37
	v_mul_f16_e64 v7, v7, v251
	v_fma_f16 v41, v11, v60, -v41
	v_mul_f16_e64 v11, v11, v252
	v_fma_f16 v33, v6, v63, -v33
	v_add_f16_e32 v43, v3, v37
	v_fmac_f16_e32 v7, v34, v59
	v_add_f16_e32 v34, v37, v41
	v_fmac_f16_e32 v11, v40, v60
	v_lshrrev_b32_e32 v40, 16, v3
	v_mul_f16_e64 v6, v6, v255
	v_fma_f16 v39, v10, v64, -v39
	v_fmac_f16_e32 v3, -0.5, v34
	v_add_f16_e32 v34, v7, v11
	v_add_f16_e32 v44, v40, v7
	v_sub_f16_e32 v7, v7, v11
	v_mul_f16_e64 v10, v10, v254
	v_fmac_f16_e32 v6, v28, v63
	v_fmac_f16_e32 v40, -0.5, v34
	v_sub_f16_e32 v28, v33, v39
	v_fmamk_f16 v34, v7, 0x3aee, v3
	v_fmac_f16_e32 v3, 0xbaee, v7
	v_sub_f16_e32 v7, v37, v41
	v_fmac_f16_e32 v10, v38, v64
	s_delay_alu instid0(VALU_DEP_2) | instskip(SKIP_2) | instid1(VALU_DEP_4)
	v_fmamk_f16 v37, v7, 0xbaee, v40
	v_fmac_f16_e32 v40, 0x3aee, v7
	v_add_f16_e32 v7, v33, v39
	v_add_f16_e32 v38, v6, v10
	s_delay_alu instid0(VALU_DEP_3) | instskip(SKIP_1) | instid1(VALU_DEP_4)
	v_pack_b32_f16 v3, v3, v40
	v_lshrrev_b32_e32 v40, 16, v2
	v_fma_f16 v7, -0.5, v7, v2
	v_add_f16_e32 v2, v2, v33
	s_delay_alu instid0(VALU_DEP_3) | instskip(SKIP_1) | instid1(VALU_DEP_3)
	v_add_f16_e32 v33, v40, v6
	v_sub_f16_e32 v6, v6, v10
	v_add_f16_e32 v2, v2, v39
	v_fmac_f16_e32 v40, -0.5, v38
	s_delay_alu instid0(VALU_DEP_4) | instskip(SKIP_1) | instid1(VALU_DEP_2)
	v_add_f16_e32 v10, v33, v10
	v_lshrrev_b32_e32 v33, 3, v25
	v_pack_b32_f16 v2, v2, v10
	s_delay_alu instid0(VALU_DEP_2) | instskip(SKIP_3) | instid1(VALU_DEP_4)
	v_mul_u32_u24_e32 v33, 24, v33
	v_fmamk_f16 v10, v6, 0x3aee, v7
	v_fmac_f16_e32 v7, 0xbaee, v6
	v_add_f16_e32 v6, v44, v11
	v_or_b32_e32 v31, v33, v31
	v_fmamk_f16 v33, v28, 0xbaee, v40
	v_fmac_f16_e32 v40, 0x3aee, v28
	s_delay_alu instid0(VALU_DEP_3) | instskip(NEXT) | instid1(VALU_DEP_3)
	v_lshlrev_b32_e32 v168, 2, v31
	v_pack_b32_f16 v10, v10, v33
	s_delay_alu instid0(VALU_DEP_3)
	v_pack_b32_f16 v7, v7, v40
	v_lshrrev_b32_e32 v31, 16, v18
	ds_store_2addr_b32 v168, v2, v10 offset1:8
	v_lshrrev_b32_e32 v10, 3, v237
	v_add_f16_e32 v2, v43, v41
	ds_store_b32 v168, v7 offset:64
	v_lshrrev_b32_e32 v7, 16, v15
	v_mul_u32_u24_e32 v10, 24, v10
	v_pack_b32_f16 v2, v2, v6
	v_pack_b32_f16 v6, v34, v37
	s_delay_alu instid0(VALU_DEP_3) | instskip(NEXT) | instid1(VALU_DEP_1)
	v_or_b32_e32 v10, v10, v32
	v_lshlrev_b32_e32 v37, 2, v10
	s_clause 0x1
	scratch_store_b32 off, v45, off offset:160
	scratch_store_b32 off, v37, off offset:164
	ds_store_2addr_b32 v37, v2, v6 offset1:8
	v_lshrrev_b32_e32 v2, 16, v14
	ds_store_b32 v37, v3 offset:64
	v_lshrrev_b32_e32 v118, 16, v67
	v_lshrrev_b32_e32 v114, 16, v68
	s_delay_alu instid0(VALU_DEP_2) | instskip(SKIP_3) | instid1(VALU_DEP_4)
	v_mul_f16_e32 v6, v2, v118
	v_lshrrev_b32_e32 v98, 16, v65
	v_lshrrev_b32_e32 v99, 16, v66
	v_mul_f16_e32 v11, v14, v118
	v_fma_f16 v6, v14, v67, -v6
	s_delay_alu instid0(VALU_DEP_4) | instskip(NEXT) | instid1(VALU_DEP_4)
	v_mul_f16_e32 v10, v7, v98
	v_mul_f16_e32 v32, v31, v99
	;; [unrolled: 1-line block ×3, first 2 shown]
	v_fmac_f16_e32 v11, v2, v67
	v_lshrrev_b32_e32 v130, 16, v57
	v_fma_f16 v10, v15, v65, -v10
	v_fma_f16 v32, v18, v66, -v32
	v_mul_f16_e32 v18, v18, v99
	v_fmac_f16_e32 v14, v7, v65
	v_lshrrev_b32_e32 v15, 16, v17
	v_add_f16_e32 v33, v13, v10
	v_add_f16_e32 v7, v10, v32
	v_fmac_f16_e32 v18, v31, v66
	v_lshrrev_b32_e32 v31, 16, v13
	v_mul_f16_e32 v28, v15, v114
	v_lshrrev_b32_e32 v133, 16, v58
	v_fmac_f16_e32 v13, -0.5, v7
	v_add_f16_e32 v7, v14, v18
	v_add_f16_e32 v34, v31, v14
	v_fma_f16 v28, v17, v68, -v28
	v_mul_f16_e32 v17, v17, v114
	v_lshrrev_b32_e32 v141, 16, v61
	v_fmac_f16_e32 v31, -0.5, v7
	v_sub_f16_e32 v7, v14, v18
	v_sub_f16_e32 v2, v6, v28
	v_fmac_f16_e32 v17, v15, v68
	v_add_f16_e32 v3, v34, v18
	v_mul_f16_e64 v18, v27, v133
	v_fmamk_f16 v14, v7, 0x3aee, v13
	v_fmac_f16_e32 v13, 0xbaee, v7
	v_sub_f16_e32 v7, v10, v32
	v_add_f16_e32 v15, v11, v17
	v_lshrrev_b32_e32 v140, 16, v62
	s_delay_alu instid0(VALU_DEP_3) | instskip(SKIP_2) | instid1(VALU_DEP_2)
	v_fmamk_f16 v10, v7, 0xbaee, v31
	v_fmac_f16_e32 v31, 0x3aee, v7
	v_add_f16_e32 v7, v6, v28
	v_pack_b32_f16 v13, v13, v31
	s_delay_alu instid0(VALU_DEP_2) | instskip(SKIP_2) | instid1(VALU_DEP_1)
	v_fma_f16 v7, -0.5, v7, v12
	v_lshrrev_b32_e32 v31, 16, v12
	v_add_f16_e32 v12, v12, v6
	v_add_f16_e32 v6, v12, v28
	s_delay_alu instid0(VALU_DEP_3) | instskip(SKIP_3) | instid1(VALU_DEP_4)
	v_add_f16_e32 v12, v31, v11
	v_fmac_f16_e32 v31, -0.5, v15
	v_lshrrev_b32_e32 v15, 3, v9
	v_sub_f16_e32 v11, v11, v17
	v_add_f16_e32 v12, v12, v17
	s_delay_alu instid0(VALU_DEP_4) | instskip(NEXT) | instid1(VALU_DEP_4)
	v_fmamk_f16 v17, v2, 0xbaee, v31
	v_mul_u32_u24_e32 v15, 24, v15
	v_fmac_f16_e32 v31, 0x3aee, v2
	v_add_f16_e32 v2, v33, v32
	v_pack_b32_f16 v6, v6, v12
	v_fmamk_f16 v12, v11, 0x3aee, v7
	v_or_b32_e32 v15, v15, v48
	v_fmac_f16_e32 v7, 0xbaee, v11
	v_pack_b32_f16 v2, v2, v3
	v_pack_b32_f16 v3, v14, v10
	;; [unrolled: 1-line block ×3, first 2 shown]
	v_lshlrev_b32_e32 v171, 2, v15
	v_lshrrev_b32_e32 v15, 16, v27
	v_mul_f16_e64 v11, v22, v130
	v_mul_f16_e64 v10, v21, v141
	ds_store_2addr_b32 v171, v6, v12 offset1:8
	v_pack_b32_f16 v6, v7, v31
	v_lshrrev_b32_e32 v7, 3, v8
	v_mul_f16_e64 v17, v15, v133
	v_lshrrev_b32_e32 v12, 16, v26
	v_fmac_f16_e32 v18, v15, v58
	ds_store_b32 v171, v6 offset:64
	v_mul_u32_u24_e32 v7, 24, v7
	v_lshrrev_b32_e32 v6, 16, v22
	v_fma_f16 v17, v27, v58, -v17
	v_mul_f16_e64 v14, v12, v140
	v_lshrrev_b32_e32 v15, 16, v20
	v_or_b32_e32 v7, v7, v49
	v_fmac_f16_e32 v11, v6, v57
	s_delay_alu instid0(VALU_DEP_4) | instskip(NEXT) | instid1(VALU_DEP_3)
	v_fma_f16 v14, v26, v62, -v14
	v_lshlrev_b32_e32 v170, 2, v7
	v_mul_f16_e64 v7, v6, v130
	ds_store_2addr_b32 v170, v2, v3 offset1:8
	v_fma_f16 v7, v22, v57, -v7
	v_lshrrev_b32_e32 v2, 16, v21
	ds_store_b32 v170, v13 offset:64
	v_add_f16_e32 v6, v7, v17
	v_mul_f16_e64 v3, v2, v141
	v_add_f16_e32 v22, v20, v7
	v_fmac_f16_e32 v10, v2, v61
	s_delay_alu instid0(VALU_DEP_4) | instskip(SKIP_4) | instid1(VALU_DEP_4)
	v_fmac_f16_e32 v20, -0.5, v6
	v_add_f16_e32 v6, v11, v18
	v_fma_f16 v3, v21, v61, -v3
	v_mul_f16_e64 v21, v26, v140
	v_add_f16_e32 v26, v15, v11
	v_fmac_f16_e32 v15, -0.5, v6
	v_sub_f16_e32 v6, v11, v18
	s_delay_alu instid0(VALU_DEP_4) | instskip(SKIP_1) | instid1(VALU_DEP_3)
	v_fmac_f16_e32 v21, v12, v62
	v_sub_f16_e32 v2, v3, v14
	v_fmamk_f16 v11, v6, 0x3aee, v20
	v_fmac_f16_e32 v20, 0xbaee, v6
	v_sub_f16_e32 v6, v7, v17
	s_delay_alu instid0(VALU_DEP_1) | instskip(SKIP_2) | instid1(VALU_DEP_2)
	v_fmamk_f16 v7, v6, 0xbaee, v15
	v_fmac_f16_e32 v15, 0x3aee, v6
	v_add_f16_e32 v6, v3, v14
	v_pack_b32_f16 v15, v20, v15
	s_delay_alu instid0(VALU_DEP_2) | instskip(SKIP_2) | instid1(VALU_DEP_2)
	v_fma_f16 v6, -0.5, v6, v19
	v_lshrrev_b32_e32 v20, 16, v19
	v_add_f16_e32 v19, v19, v3
	v_add_f16_e32 v12, v20, v10
	s_delay_alu instid0(VALU_DEP_2) | instskip(SKIP_2) | instid1(VALU_DEP_4)
	v_add_f16_e32 v3, v19, v14
	v_add_f16_e32 v14, v10, v21
	v_sub_f16_e32 v10, v10, v21
	v_add_f16_e32 v12, v12, v21
	s_delay_alu instid0(VALU_DEP_3) | instskip(SKIP_1) | instid1(VALU_DEP_3)
	v_fmac_f16_e32 v20, -0.5, v14
	v_lshrrev_b32_e32 v14, 3, v5
	v_pack_b32_f16 v3, v3, v12
	v_fmamk_f16 v12, v10, 0x3aee, v6
	s_delay_alu instid0(VALU_DEP_4) | instskip(NEXT) | instid1(VALU_DEP_4)
	v_fmamk_f16 v19, v2, 0xbaee, v20
	v_mul_u32_u24_e32 v14, 24, v14
	v_fmac_f16_e32 v6, 0xbaee, v10
	v_lshrrev_b32_e32 v10, 3, v4
	v_fmac_f16_e32 v20, 0x3aee, v2
	v_pack_b32_f16 v12, v12, v19
	v_or_b32_e32 v14, v14, v50
	v_add_f16_e32 v2, v22, v17
	v_mul_u32_u24_e32 v10, 24, v10
	v_pack_b32_f16 v6, v6, v20
	s_delay_alu instid0(VALU_DEP_4) | instskip(NEXT) | instid1(VALU_DEP_3)
	v_lshlrev_b32_e32 v174, 2, v14
	v_or_b32_e32 v10, v10, v51
	ds_store_2addr_b32 v174, v3, v12 offset1:8
	v_add_f16_e32 v3, v26, v18
	v_lshlrev_b32_e32 v175, 2, v10
	ds_store_b32 v174, v6 offset:64
	v_pack_b32_f16 v2, v2, v3
	v_pack_b32_f16 v3, v11, v7
	ds_store_b32 v175, v15 offset:64
	ds_store_2addr_b32 v175, v2, v3 offset1:8
	v_and_b32_e32 v2, 0xff, v24
	global_wb scope:SCOPE_SE
	s_wait_storecnt_dscnt 0x0
	s_barrier_signal -1
	s_barrier_wait -1
	global_inv scope:SCOPE_SE
	v_mul_lo_u16 v2, 0xab, v2
	s_delay_alu instid0(VALU_DEP_1) | instskip(NEXT) | instid1(VALU_DEP_1)
	v_lshrrev_b16 v3, 12, v2
	v_mul_lo_u16 v2, v3, 24
	v_and_b32_e32 v3, 0xffff, v3
	s_delay_alu instid0(VALU_DEP_2) | instskip(SKIP_2) | instid1(VALU_DEP_4)
	v_sub_nc_u16 v6, v24, v2
	v_and_b32_e32 v2, 0xff, v29
	v_and_b32_e32 v24, 0xff, v25
	v_mul_u32_u24_e32 v3, 0x48, v3
	s_delay_alu instid0(VALU_DEP_4) | instskip(NEXT) | instid1(VALU_DEP_4)
	v_and_b32_e32 v34, 0xff, v6
	v_mul_lo_u16 v2, 0xab, v2
	s_delay_alu instid0(VALU_DEP_1) | instskip(NEXT) | instid1(VALU_DEP_1)
	v_lshrrev_b16 v10, 12, v2
	v_mul_lo_u16 v2, v10, 24
	v_mul_lo_u16 v10, 0x48, v10
	s_delay_alu instid0(VALU_DEP_2) | instskip(SKIP_1) | instid1(VALU_DEP_3)
	v_sub_nc_u16 v7, v29, v2
	v_mul_lo_u16 v2, 0xab, v24
	v_and_b32_e32 v10, 0xf8, v10
	s_delay_alu instid0(VALU_DEP_3) | instskip(NEXT) | instid1(VALU_DEP_3)
	v_and_b32_e32 v13, 0xff, v7
	v_lshrrev_b16 v28, 12, v2
	v_and_b32_e32 v2, 0xff, v237
	s_delay_alu instid0(VALU_DEP_3) | instskip(SKIP_1) | instid1(VALU_DEP_3)
	v_lshlrev_b32_e32 v6, 3, v13
	v_add_lshl_u32 v106, v10, v13, 2
	v_mul_lo_u16 v11, 0xab, v2
	v_mul_lo_u16 v2, v2, 57
	global_load_b64 v[51:52], v6, s[10:11] offset:88
	v_lshlrev_b32_e32 v6, 3, v34
	v_lshrrev_b16 v33, 12, v11
	v_mul_lo_u16 v11, v28, 24
	v_and_b32_e32 v28, 0xffff, v28
	global_load_b64 v[45:46], v6, s[10:11] offset:88
	v_mul_lo_u16 v12, v33, 24
	v_sub_nc_u16 v11, v25, v11
	v_mul_u32_u24_e32 v28, 0x48, v28
	s_delay_alu instid0(VALU_DEP_3) | instskip(NEXT) | instid1(VALU_DEP_3)
	v_sub_nc_u16 v12, v237, v12
	v_and_b32_e32 v72, 0xff, v11
	s_delay_alu instid0(VALU_DEP_2) | instskip(NEXT) | instid1(VALU_DEP_2)
	v_and_b32_e32 v73, 0xff, v12
	v_lshlrev_b32_e32 v6, 3, v72
	s_delay_alu instid0(VALU_DEP_2)
	v_lshlrev_b32_e32 v7, 3, v73
	s_clause 0x1
	global_load_b64 v[41:42], v6, s[10:11] offset:88
	global_load_b64 v[37:38], v7, s[10:11] offset:88
	ds_load_2addr_b32 v[6:7], v23 offset0:120 offset1:183
	s_wait_dscnt 0x0
	v_lshrrev_b32_e32 v11, 16, v6
	v_lshrrev_b32_e32 v14, 16, v7
	s_wait_loadcnt 0x3
	v_lshrrev_b32_e32 v197, 16, v51
	v_lshrrev_b32_e32 v196, 16, v52
	s_delay_alu instid0(VALU_DEP_2)
	v_mul_f16_e64 v12, v11, v197
	s_wait_loadcnt 0x2
	v_lshrrev_b32_e32 v193, 16, v45
	v_mul_f16_e64 v17, v6, v197
	v_lshrrev_b32_e32 v195, 16, v46
	v_fma_f16 v12, v6, v51, -v12
	s_delay_alu instid0(VALU_DEP_4) | instskip(SKIP_2) | instid1(VALU_DEP_3)
	v_mul_f16_e64 v15, v14, v193
	v_mul_f16_e64 v18, v7, v193
	v_fmac_f16_e32 v17, v11, v51
	v_fma_f16 v15, v7, v45, -v15
	ds_load_2addr_b32 v[6:7], v79 offset0:112 offset1:175
	v_fmac_f16_e32 v18, v14, v45
	s_wait_loadcnt 0x1
	v_lshrrev_b32_e32 v214, 16, v41
	s_wait_loadcnt 0x0
	v_lshrrev_b32_e32 v210, 16, v37
	v_lshrrev_b32_e32 v211, 16, v38
	v_lshrrev_b32_e32 v213, 16, v42
	s_wait_dscnt 0x0
	v_lshrrev_b32_e32 v19, 16, v6
	v_lshrrev_b32_e32 v21, 16, v7
	v_mul_f16_e64 v75, v7, v195
	s_delay_alu instid0(VALU_DEP_3) | instskip(NEXT) | instid1(VALU_DEP_3)
	v_mul_f16_e64 v20, v19, v196
	v_mul_f16_e64 v22, v21, v195
	s_delay_alu instid0(VALU_DEP_3) | instskip(NEXT) | instid1(VALU_DEP_3)
	v_fmac_f16_e32 v75, v21, v46
	v_fma_f16 v20, v6, v52, -v20
	s_delay_alu instid0(VALU_DEP_3)
	v_fma_f16 v74, v7, v46, -v22
	v_mul_f16_e64 v22, v6, v196
	ds_load_2addr_b32 v[6:7], v93 offset1:63
	v_sub_f16_e32 v85, v12, v20
	v_add_f16_e32 v14, v15, v74
	v_fmac_f16_e32 v22, v19, v52
	s_delay_alu instid0(VALU_DEP_1)
	v_add_f16_e32 v11, v17, v22
	v_sub_f16_e32 v86, v17, v22
	s_wait_dscnt 0x0
	v_lshrrev_b32_e32 v21, 16, v7
	v_add_f16_e32 v77, v7, v15
	v_fmac_f16_e32 v7, -0.5, v14
	v_add_f16_e32 v14, v18, v75
	v_lshrrev_b32_e32 v84, 16, v6
	v_add_f16_e32 v78, v21, v18
	s_delay_alu instid0(VALU_DEP_3) | instskip(SKIP_1) | instid1(VALU_DEP_3)
	v_fmac_f16_e32 v21, -0.5, v14
	v_sub_f16_e32 v14, v18, v75
	v_add_f16_e32 v75, v78, v75
	s_delay_alu instid0(VALU_DEP_2) | instskip(SKIP_3) | instid1(VALU_DEP_2)
	v_fmamk_f16 v80, v14, 0x3aee, v7
	v_fmac_f16_e32 v7, 0xbaee, v14
	v_sub_f16_e32 v14, v15, v74
	v_add_f16_e32 v74, v77, v74
	v_fmamk_f16 v81, v14, 0xbaee, v21
	v_fmac_f16_e32 v21, 0x3aee, v14
	v_add_f16_e32 v14, v12, v20
	s_delay_alu instid0(VALU_DEP_2) | instskip(NEXT) | instid1(VALU_DEP_2)
	v_pack_b32_f16 v83, v7, v21
	v_fma_f16 v82, -0.5, v14, v6
	v_add_f16_e32 v6, v6, v12
	v_add_f16_e32 v7, v84, v17
	v_fmac_f16_e32 v84, -0.5, v11
	s_delay_alu instid0(VALU_DEP_3) | instskip(NEXT) | instid1(VALU_DEP_3)
	v_add_f16_e32 v6, v6, v20
	v_add_f16_e32 v7, v7, v22
	s_delay_alu instid0(VALU_DEP_1)
	v_pack_b32_f16 v87, v6, v7
	v_fmamk_f16 v6, v86, 0x3aee, v82
	v_fmamk_f16 v7, v85, 0xbaee, v84
	v_fmac_f16_e32 v82, 0xbaee, v86
	v_fmac_f16_e32 v84, 0x3aee, v85
	v_add_lshl_u32 v85, v3, v34, 2
	v_pack_b32_f16 v3, v74, v75
	v_pack_b32_f16 v88, v6, v7
	v_mul_u32_u24_e32 v6, 0xaaab, v89
	v_pack_b32_f16 v34, v82, v84
	v_pack_b32_f16 v74, v80, v81
	s_delay_alu instid0(VALU_DEP_3) | instskip(NEXT) | instid1(VALU_DEP_1)
	v_lshrrev_b32_e32 v90, 20, v6
	v_mul_lo_u16 v6, v90, 24
	s_delay_alu instid0(VALU_DEP_1) | instskip(SKIP_1) | instid1(VALU_DEP_1)
	v_sub_nc_u16 v91, v9, v6
	v_mul_u32_u24_e32 v6, 0xaaab, v92
	v_lshrrev_b32_e32 v94, 20, v6
	s_delay_alu instid0(VALU_DEP_3) | instskip(NEXT) | instid1(VALU_DEP_2)
	v_lshlrev_b16 v6, 3, v91
	v_mul_lo_u16 v7, v94, 24
	s_delay_alu instid0(VALU_DEP_2) | instskip(NEXT) | instid1(VALU_DEP_2)
	v_and_b32_e32 v6, 0xffff, v6
	v_sub_nc_u16 v95, v8, v7
	s_delay_alu instid0(VALU_DEP_2) | instskip(SKIP_2) | instid1(VALU_DEP_3)
	v_add_co_u32 v6, s2, s10, v6
	s_wait_alu 0xf1ff
	v_add_co_ci_u32_e64 v7, null, s11, 0, s2
	v_lshlrev_b16 v10, 3, v95
	global_load_b64 v[49:50], v[6:7], off offset:88
	v_and_b32_e32 v10, 0xffff, v10
	s_delay_alu instid0(VALU_DEP_1) | instskip(SKIP_4) | instid1(VALU_DEP_1)
	v_add_co_u32 v6, s2, s10, v10
	s_wait_alu 0xf1ff
	v_add_co_ci_u32_e64 v7, null, s11, 0, s2
	global_load_b64 v[47:48], v[6:7], off offset:88
	v_mul_u32_u24_e32 v6, 0xaaab, v96
	v_lshrrev_b32_e32 v100, 20, v6
	v_mul_u32_u24_e32 v6, 0xaaab, v101
	s_delay_alu instid0(VALU_DEP_1) | instskip(NEXT) | instid1(VALU_DEP_3)
	v_lshrrev_b32_e32 v103, 20, v6
	v_mul_lo_u16 v6, v100, 24
	s_delay_alu instid0(VALU_DEP_1) | instskip(NEXT) | instid1(VALU_DEP_3)
	v_sub_nc_u16 v105, v5, v6
	v_mul_lo_u16 v6, v103, 24
	s_delay_alu instid0(VALU_DEP_1) | instskip(NEXT) | instid1(VALU_DEP_3)
	v_sub_nc_u16 v108, v4, v6
	v_lshlrev_b16 v6, 3, v105
	s_delay_alu instid0(VALU_DEP_2) | instskip(NEXT) | instid1(VALU_DEP_2)
	v_lshlrev_b16 v7, 3, v108
	v_and_b32_e32 v6, 0xffff, v6
	s_delay_alu instid0(VALU_DEP_2) | instskip(NEXT) | instid1(VALU_DEP_2)
	v_and_b32_e32 v10, 0xffff, v7
	v_add_co_u32 v6, s2, s10, v6
	s_wait_alu 0xf1ff
	v_add_co_ci_u32_e64 v7, null, s11, 0, s2
	s_delay_alu instid0(VALU_DEP_3)
	v_add_co_u32 v10, s2, s10, v10
	s_wait_alu 0xf1ff
	v_add_co_ci_u32_e64 v11, null, s11, 0, s2
	s_clause 0x1
	global_load_b64 v[43:44], v[6:7], off offset:88
	global_load_b64 v[39:40], v[10:11], off offset:88
	ds_load_2addr_b32 v[6:7], v93 offset0:126 offset1:189
	ds_load_2addr_b32 v[10:11], v69 offset0:118 offset1:181
	;; [unrolled: 1-line block ×9, first 2 shown]
	global_wb scope:SCOPE_SE
	s_wait_loadcnt_dscnt 0x0
	s_barrier_signal -1
	s_barrier_wait -1
	global_inv scope:SCOPE_SE
	ds_store_2addr_b32 v106, v87, v88 offset1:24
	scratch_store_b32 off, v106, off offset:124 ; 4-byte Folded Spill
	ds_store_b32 v106, v34 offset:192
	ds_store_2addr_b32 v85, v3, v74 offset1:24
	scratch_store_b32 off, v85, off offset:128 ; 4-byte Folded Spill
	v_lshrrev_b32_e32 v74, 16, v11
	v_lshrrev_b32_e32 v80, 16, v13
	;; [unrolled: 1-line block ×4, first 2 shown]
	s_delay_alu instid0(VALU_DEP_4) | instskip(NEXT) | instid1(VALU_DEP_4)
	v_mul_f16_e64 v75, v74, v210
	v_mul_f16_e64 v81, v80, v211
	s_delay_alu instid0(VALU_DEP_4) | instskip(NEXT) | instid1(VALU_DEP_4)
	v_mul_f16_e64 v34, v3, v214
	v_mul_f16_e64 v78, v77, v213
	s_delay_alu instid0(VALU_DEP_4)
	v_fma_f16 v75, v11, v37, -v75
	v_mul_f16_e64 v11, v11, v210
	v_fma_f16 v81, v13, v38, -v81
	v_mul_f16_e64 v13, v13, v211
	v_fma_f16 v34, v10, v41, -v34
	v_add_f16_e32 v82, v7, v75
	v_fmac_f16_e32 v11, v74, v37
	v_add_f16_e32 v74, v75, v81
	v_fmac_f16_e32 v13, v80, v38
	v_lshrrev_b32_e32 v80, 16, v7
	v_mul_f16_e64 v10, v10, v214
	v_fma_f16 v78, v12, v42, -v78
	v_fmac_f16_e32 v7, -0.5, v74
	v_add_f16_e32 v74, v11, v13
	v_add_f16_e32 v84, v80, v11
	v_sub_f16_e32 v11, v11, v13
	v_mul_f16_e64 v12, v12, v213
	v_fmac_f16_e32 v10, v3, v41
	v_fmac_f16_e32 v80, -0.5, v74
	v_sub_f16_e32 v3, v34, v78
	v_fmamk_f16 v74, v11, 0x3aee, v7
	v_fmac_f16_e32 v7, 0xbaee, v11
	v_sub_f16_e32 v11, v75, v81
	v_fmac_f16_e32 v12, v77, v42
	s_delay_alu instid0(VALU_DEP_2) | instskip(SKIP_2) | instid1(VALU_DEP_4)
	v_fmamk_f16 v75, v11, 0xbaee, v80
	v_fmac_f16_e32 v80, 0x3aee, v11
	v_add_f16_e32 v11, v34, v78
	v_add_f16_e32 v77, v10, v12
	s_delay_alu instid0(VALU_DEP_3) | instskip(SKIP_1) | instid1(VALU_DEP_4)
	v_pack_b32_f16 v7, v7, v80
	v_lshrrev_b32_e32 v80, 16, v6
	v_fma_f16 v11, -0.5, v11, v6
	v_add_f16_e32 v6, v6, v34
	s_delay_alu instid0(VALU_DEP_3) | instskip(SKIP_1) | instid1(VALU_DEP_3)
	v_add_f16_e32 v34, v80, v10
	v_sub_f16_e32 v10, v10, v12
	v_add_f16_e32 v6, v6, v78
	v_fmac_f16_e32 v80, -0.5, v77
	s_delay_alu instid0(VALU_DEP_4) | instskip(SKIP_1) | instid1(VALU_DEP_3)
	v_add_f16_e32 v12, v34, v12
	v_add_lshl_u32 v34, v28, v72, 2
	v_fmamk_f16 v28, v3, 0xbaee, v80
	v_fmac_f16_e32 v80, 0x3aee, v3
	s_delay_alu instid0(VALU_DEP_4)
	v_pack_b32_f16 v6, v6, v12
	v_fmamk_f16 v12, v10, 0x3aee, v11
	v_and_b32_e32 v3, 0xffff, v33
	v_fmac_f16_e32 v11, 0xbaee, v10
	v_pack_b32_f16 v10, v74, v75
	v_lshrrev_b16 v75, 12, v2
	v_pack_b32_f16 v12, v12, v28
	ds_store_b32 v85, v83 offset:192
	ds_store_2addr_b32 v34, v6, v12 offset1:24
	v_add_f16_e32 v6, v82, v81
	v_add_f16_e32 v12, v84, v13
	v_mul_u32_u24_e32 v3, 0x48, v3
	scratch_store_b32 off, v34, off offset:136 ; 4-byte Folded Spill
	v_lshrrev_b32_e32 v28, 16, v20
	v_mul_lo_u16 v2, 0x48, v75
	v_add_lshl_u32 v73, v3, v73, 2
	v_pack_b32_f16 v3, v6, v12
	v_pack_b32_f16 v6, v11, v80
	ds_store_b32 v34, v6 offset:192
	ds_store_2addr_b32 v73, v3, v10 offset1:24
	v_lshrrev_b32_e32 v3, 16, v17
	v_lshrrev_b32_e32 v10, 16, v18
	ds_store_b32 v73, v7 offset:192
	v_sub_nc_u16 v2, v237, v2
	s_delay_alu instid0(VALU_DEP_1) | instskip(SKIP_2) | instid1(VALU_DEP_2)
	v_and_b32_e32 v78, 0xff, v2
	v_lshrrev_b32_e32 v221, 16, v49
	v_lshrrev_b32_e32 v220, 16, v50
	v_mul_f16_e64 v6, v3, v221
	v_mul_f16_e64 v12, v17, v221
	s_delay_alu instid0(VALU_DEP_2) | instskip(SKIP_1) | instid1(VALU_DEP_3)
	v_fma_f16 v6, v17, v49, -v6
	v_lshrrev_b32_e32 v17, 16, v19
	v_fmac_f16_e32 v12, v3, v49
	v_lshrrev_b32_e32 v215, 16, v47
	v_lshrrev_b32_e32 v216, 16, v48
	s_delay_alu instid0(VALU_DEP_2) | instskip(NEXT) | instid1(VALU_DEP_2)
	v_mul_f16_e64 v11, v10, v215
	v_mul_f16_e64 v33, v28, v216
	v_mul_f16_e64 v13, v18, v215
	s_delay_alu instid0(VALU_DEP_3) | instskip(SKIP_1) | instid1(VALU_DEP_4)
	v_fma_f16 v11, v18, v47, -v11
	v_mul_f16_e64 v18, v17, v220
	v_fma_f16 v33, v20, v48, -v33
	v_mul_f16_e64 v20, v20, v216
	v_fmac_f16_e32 v13, v10, v47
	v_lshrrev_b32_e32 v10, 16, v15
	v_fma_f16 v18, v19, v50, -v18
	v_mul_f16_e64 v19, v19, v220
	v_fmac_f16_e32 v20, v28, v48
	v_add_f16_e32 v3, v11, v33
	v_add_f16_e32 v28, v10, v13
	s_delay_alu instid0(VALU_DEP_4) | instskip(SKIP_1) | instid1(VALU_DEP_4)
	v_fmac_f16_e32 v19, v17, v50
	v_add_f16_e32 v17, v15, v11
	v_fmac_f16_e32 v15, -0.5, v3
	v_add_f16_e32 v3, v13, v20
	s_delay_alu instid0(VALU_DEP_4) | instskip(NEXT) | instid1(VALU_DEP_2)
	v_add_f16_e32 v72, v12, v19
	v_fmac_f16_e32 v10, -0.5, v3
	v_sub_f16_e32 v3, v13, v20
	s_delay_alu instid0(VALU_DEP_1) | instskip(SKIP_2) | instid1(VALU_DEP_1)
	v_fmamk_f16 v13, v3, 0x3aee, v15
	v_fmac_f16_e32 v15, 0xbaee, v3
	v_sub_f16_e32 v3, v11, v33
	v_fmamk_f16 v11, v3, 0xbaee, v10
	v_fmac_f16_e32 v10, 0x3aee, v3
	v_add_f16_e32 v3, v6, v18
	v_lshrrev_b32_e32 v222, 16, v39
	v_lshrrev_b32_e32 v223, 16, v40
	;; [unrolled: 1-line block ×3, first 2 shown]
	v_pack_b32_f16 v10, v15, v10
	v_lshrrev_b32_e32 v15, 16, v14
	v_fma_f16 v3, -0.5, v3, v14
	v_add_f16_e32 v14, v14, v6
	v_sub_f16_e32 v6, v6, v18
	v_lshrrev_b32_e32 v232, 16, v44
	v_add_f16_e32 v34, v15, v12
	v_sub_f16_e32 v12, v12, v19
	v_add_f16_e32 v14, v14, v18
	v_fmac_f16_e32 v15, -0.5, v72
	v_mad_u16 v18, 0x48, v90, v91
	v_add_f16_e32 v19, v34, v19
	s_delay_alu instid0(VALU_DEP_3) | instskip(NEXT) | instid1(VALU_DEP_3)
	v_fmamk_f16 v34, v6, 0xbaee, v15
	v_and_b32_e32 v7, 0xffff, v18
	s_delay_alu instid0(VALU_DEP_3)
	v_pack_b32_f16 v14, v14, v19
	v_fmamk_f16 v19, v12, 0x3aee, v3
	v_fmac_f16_e32 v3, 0xbaee, v12
	v_fmac_f16_e32 v15, 0x3aee, v6
	v_lshlrev_b32_e32 v18, 2, v7
	v_mad_u16 v12, 0x48, v94, v95
	v_add_f16_e32 v6, v17, v33
	v_add_f16_e32 v7, v28, v20
	v_pack_b32_f16 v3, v3, v15
	v_pack_b32_f16 v19, v19, v34
	v_lshrrev_b32_e32 v17, 16, v32
	v_mul_f16_e64 v20, v32, v223
	v_pack_b32_f16 v6, v6, v7
	ds_store_b32 v18, v3 offset:192
	v_and_b32_e32 v3, 0xffff, v12
	v_pack_b32_f16 v7, v13, v11
	ds_store_2addr_b32 v18, v14, v19 offset1:24
	v_mul_f16_e64 v12, v26, v233
	v_mul_f16_e64 v13, v27, v222
	v_lshlrev_b32_e32 v28, 2, v3
	s_clause 0x1
	scratch_store_b32 off, v73, off offset:132
	scratch_store_b32 off, v18, off offset:144
	v_mul_f16_e64 v18, v17, v223
	v_lshrrev_b32_e32 v3, 16, v26
	scratch_store_b32 off, v28, off offset:140 ; 4-byte Folded Spill
	ds_store_2addr_b32 v28, v6, v7 offset1:24
	v_lshrrev_b32_e32 v7, 16, v27
	v_fma_f16 v18, v32, v40, -v18
	v_mul_f16_e64 v6, v3, v233
	v_lshrrev_b32_e32 v14, 16, v31
	v_mul_f16_e64 v19, v31, v232
	v_mul_f16_e64 v11, v7, v222
	v_fmac_f16_e32 v12, v3, v43
	v_fmac_f16_e32 v13, v7, v39
	;; [unrolled: 1-line block ×3, first 2 shown]
	v_mul_f16_e64 v15, v14, v232
	v_fma_f16 v11, v27, v39, -v11
	v_fmac_f16_e32 v19, v14, v44
	v_lshrrev_b32_e32 v7, 16, v22
	v_fma_f16 v6, v26, v43, -v6
	v_fma_f16 v15, v31, v44, -v15
	v_add_f16_e32 v3, v11, v18
	v_add_f16_e32 v14, v22, v11
	;; [unrolled: 1-line block ×4, first 2 shown]
	ds_store_b32 v28, v10 offset:192
	v_fmac_f16_e32 v22, -0.5, v3
	v_add_f16_e32 v3, v13, v20
	s_delay_alu instid0(VALU_DEP_1) | instskip(SKIP_1) | instid1(VALU_DEP_1)
	v_fmac_f16_e32 v7, -0.5, v3
	v_sub_f16_e32 v3, v13, v20
	v_fmamk_f16 v13, v3, 0x3aee, v22
	v_fmac_f16_e32 v22, 0xbaee, v3
	v_sub_f16_e32 v3, v11, v18
	s_delay_alu instid0(VALU_DEP_1) | instskip(SKIP_2) | instid1(VALU_DEP_2)
	v_fmamk_f16 v11, v3, 0xbaee, v7
	v_fmac_f16_e32 v7, 0x3aee, v3
	v_add_f16_e32 v3, v6, v15
	v_pack_b32_f16 v7, v22, v7
	v_lshrrev_b32_e32 v22, 16, v21
	s_delay_alu instid0(VALU_DEP_3) | instskip(SKIP_2) | instid1(VALU_DEP_4)
	v_fma_f16 v3, -0.5, v3, v21
	v_add_f16_e32 v21, v21, v6
	v_sub_f16_e32 v6, v6, v15
	v_add_f16_e32 v26, v22, v12
	v_sub_f16_e32 v12, v12, v19
	s_delay_alu instid0(VALU_DEP_4) | instskip(SKIP_3) | instid1(VALU_DEP_3)
	v_add_f16_e32 v21, v21, v15
	v_fmac_f16_e32 v22, -0.5, v27
	v_mad_u16 v15, 0x48, v100, v105
	v_add_f16_e32 v19, v26, v19
	v_fmamk_f16 v26, v6, 0xbaee, v22
	s_delay_alu instid0(VALU_DEP_3) | instskip(NEXT) | instid1(VALU_DEP_3)
	v_and_b32_e32 v10, 0xffff, v15
	v_pack_b32_f16 v19, v21, v19
	v_fmamk_f16 v21, v12, 0x3aee, v3
	v_fmac_f16_e32 v3, 0xbaee, v12
	v_fmac_f16_e32 v22, 0x3aee, v6
	v_lshlrev_b32_e32 v15, 2, v10
	v_mad_u16 v12, 0x48, v103, v108
	v_add_f16_e32 v6, v14, v18
	v_add_f16_e32 v10, v17, v20
	v_pack_b32_f16 v3, v3, v22
	v_pack_b32_f16 v21, v21, v26
	s_delay_alu instid0(VALU_DEP_3)
	v_pack_b32_f16 v6, v6, v10
	ds_store_b32 v15, v3 offset:192
	v_and_b32_e32 v3, 0xffff, v12
	v_pack_b32_f16 v10, v13, v11
	ds_store_2addr_b32 v15, v19, v21 offset1:24
	v_lshlrev_b32_e32 v11, 2, v3
	v_mul_lo_u16 v3, v24, 57
	s_clause 0x1
	scratch_store_b32 off, v15, off offset:148
	scratch_store_b32 off, v11, off offset:152
	v_lshrrev_b16 v72, 12, v3
	ds_store_2addr_b32 v11, v6, v10 offset1:24
	ds_store_b32 v11, v7 offset:192
	global_wb scope:SCOPE_SE
	s_wait_storecnt_dscnt 0x0
	s_barrier_signal -1
	v_mul_lo_u16 v3, 0x48, v72
	s_barrier_wait -1
	global_inv scope:SCOPE_SE
	global_load_b64 v[33:34], v104, s[10:11] offset:280
	v_mul_u32_u24_e32 v6, 0xe38f, v89
	v_sub_nc_u16 v3, v25, v3
	global_load_b64 v[25:26], v[0:1], off offset:280
	ds_load_2addr_b32 v[0:1], v23 offset0:120 offset1:183
	v_lshlrev_b32_e32 v7, 3, v78
	v_lshrrev_b32_e32 v73, 22, v6
	v_and_b32_e32 v77, 0xff, v3
	v_and_b32_e32 v72, 0xffff, v72
	s_delay_alu instid0(VALU_DEP_3) | instskip(NEXT) | instid1(VALU_DEP_2)
	v_mul_lo_u16 v6, 0x48, v73
	v_mul_u32_u24_e32 v72, 0xd8, v72
	s_delay_alu instid0(VALU_DEP_2)
	v_sub_nc_u16 v74, v9, v6
	v_lshlrev_b32_e32 v6, 3, v77
	s_clause 0x1
	global_load_b64 v[23:24], v6, s[10:11] offset:280
	global_load_b64 v[19:20], v7, s[10:11] offset:280
	v_add_lshl_u32 v77, v72, v77, 2
	s_wait_dscnt 0x0
	v_lshrrev_b32_e32 v2, 16, v0
	v_lshrrev_b32_e32 v6, 16, v1
	s_wait_loadcnt 0x3
	v_lshrrev_b32_e32 v9, 16, v33
	v_lshrrev_b32_e32 v17, 16, v34
	s_wait_loadcnt 0x2
	v_lshrrev_b32_e32 v10, 16, v25
	v_lshrrev_b32_e32 v15, 16, v26
	v_mul_f16_e32 v3, v2, v9
	v_mul_f16_e32 v9, v0, v9
	s_delay_alu instid0(VALU_DEP_4) | instskip(SKIP_1) | instid1(VALU_DEP_4)
	v_mul_f16_e32 v7, v6, v10
	v_mul_f16_e32 v10, v1, v10
	v_fma_f16 v3, v0, v33, -v3
	s_delay_alu instid0(VALU_DEP_4) | instskip(NEXT) | instid1(VALU_DEP_4)
	v_fmac_f16_e32 v9, v2, v33
	v_fma_f16 v7, v1, v25, -v7
	ds_load_2addr_b32 v[0:1], v79 offset0:112 offset1:175
	v_fmac_f16_e32 v10, v6, v25
	s_wait_loadcnt 0x1
	v_lshrrev_b32_e32 v177, 16, v23
	s_wait_loadcnt 0x0
	v_lshrrev_b32_e32 v172, 16, v19
	v_lshrrev_b32_e32 v173, 16, v20
	;; [unrolled: 1-line block ×3, first 2 shown]
	s_wait_dscnt 0x0
	v_lshrrev_b32_e32 v11, 16, v0
	v_lshrrev_b32_e32 v13, 16, v1
	v_mul_f16_e32 v81, v1, v15
	s_delay_alu instid0(VALU_DEP_3) | instskip(NEXT) | instid1(VALU_DEP_3)
	v_mul_f16_e32 v12, v11, v17
	v_mul_f16_e32 v14, v13, v15
	s_delay_alu instid0(VALU_DEP_3) | instskip(NEXT) | instid1(VALU_DEP_3)
	v_fmac_f16_e32 v81, v13, v26
	v_fma_f16 v12, v0, v34, -v12
	s_delay_alu instid0(VALU_DEP_3) | instskip(SKIP_2) | instid1(VALU_DEP_4)
	v_fma_f16 v80, v1, v26, -v14
	v_mul_f16_e32 v14, v0, v17
	v_mul_u32_u24_e32 v0, 0xe38f, v92
	v_sub_f16_e32 v94, v3, v12
	s_delay_alu instid0(VALU_DEP_4) | instskip(NEXT) | instid1(VALU_DEP_4)
	v_add_f16_e32 v2, v7, v80
	v_fmac_f16_e32 v14, v11, v34
	s_delay_alu instid0(VALU_DEP_4) | instskip(NEXT) | instid1(VALU_DEP_2)
	v_lshrrev_b32_e32 v82, 22, v0
	v_sub_f16_e32 v95, v9, v14
	s_delay_alu instid0(VALU_DEP_2) | instskip(NEXT) | instid1(VALU_DEP_1)
	v_mul_lo_u16 v0, 0x48, v82
	v_sub_nc_u16 v83, v8, v0
	ds_load_2addr_b32 v[0:1], v93 offset1:63
	s_wait_dscnt 0x0
	v_lshrrev_b32_e32 v6, 16, v1
	v_add_f16_e32 v84, v1, v7
	v_fmac_f16_e32 v1, -0.5, v2
	v_add_f16_e32 v2, v10, v81
	v_lshrrev_b32_e32 v90, 16, v0
	v_add_f16_e32 v85, v6, v10
	s_delay_alu instid0(VALU_DEP_3) | instskip(SKIP_1) | instid1(VALU_DEP_3)
	v_fmac_f16_e32 v6, -0.5, v2
	v_sub_f16_e32 v2, v10, v81
	v_add_f16_e32 v81, v85, v81
	s_delay_alu instid0(VALU_DEP_2) | instskip(SKIP_3) | instid1(VALU_DEP_2)
	v_fmamk_f16 v86, v2, 0x3aee, v1
	v_fmac_f16_e32 v1, 0xbaee, v2
	v_sub_f16_e32 v2, v7, v80
	v_add_f16_e32 v80, v84, v80
	v_fmamk_f16 v87, v2, 0xbaee, v6
	v_fmac_f16_e32 v6, 0x3aee, v2
	v_add_f16_e32 v2, v3, v12
	s_delay_alu instid0(VALU_DEP_4) | instskip(NEXT) | instid1(VALU_DEP_4)
	v_pack_b32_f16 v80, v80, v81
	v_pack_b32_f16 v84, v86, v87
	s_delay_alu instid0(VALU_DEP_4) | instskip(SKIP_4) | instid1(VALU_DEP_4)
	v_pack_b32_f16 v89, v1, v6
	v_mul_u32_u24_e32 v1, 0xe38f, v96
	v_fma_f16 v88, -0.5, v2, v0
	v_add_f16_e32 v0, v0, v3
	v_add_f16_e32 v2, v9, v14
	v_lshrrev_b32_e32 v91, 22, v1
	s_delay_alu instid0(VALU_DEP_3) | instskip(NEXT) | instid1(VALU_DEP_2)
	v_add_f16_e32 v0, v0, v12
	v_mul_lo_u16 v1, 0x48, v91
	s_delay_alu instid0(VALU_DEP_1) | instskip(SKIP_3) | instid1(VALU_DEP_3)
	v_sub_nc_u16 v92, v5, v1
	v_add_f16_e32 v1, v90, v9
	v_fmac_f16_e32 v90, -0.5, v2
	v_mul_u32_u24_e32 v2, 0xe38f, v101
	v_add_f16_e32 v1, v1, v14
	s_delay_alu instid0(VALU_DEP_2) | instskip(NEXT) | instid1(VALU_DEP_2)
	v_lshrrev_b32_e32 v2, 22, v2
	v_pack_b32_f16 v100, v0, v1
	v_fmamk_f16 v0, v95, 0x3aee, v88
	v_fmamk_f16 v1, v94, 0xbaee, v90
	s_delay_alu instid0(VALU_DEP_4) | instskip(SKIP_2) | instid1(VALU_DEP_4)
	v_mul_lo_u16 v2, 0x48, v2
	v_fmac_f16_e32 v88, 0xbaee, v95
	v_fmac_f16_e32 v90, 0x3aee, v94
	v_pack_b32_f16 v101, v0, v1
	v_lshlrev_b16 v0, 3, v74
	v_sub_nc_u16 v96, v4, v2
	s_delay_alu instid0(VALU_DEP_4) | instskip(NEXT) | instid1(VALU_DEP_3)
	v_pack_b32_f16 v81, v88, v90
	v_and_b32_e32 v0, 0xffff, v0
	s_delay_alu instid0(VALU_DEP_1) | instskip(SKIP_4) | instid1(VALU_DEP_1)
	v_add_co_u32 v0, s2, s10, v0
	s_wait_alu 0xf1ff
	v_add_co_ci_u32_e64 v1, null, s11, 0, s2
	global_load_b64 v[31:32], v[0:1], off offset:280
	v_lshlrev_b16 v0, 3, v83
	v_and_b32_e32 v0, 0xffff, v0
	s_delay_alu instid0(VALU_DEP_1)
	v_add_co_u32 v0, s2, s10, v0
	s_wait_alu 0xf1ff
	v_add_co_ci_u32_e64 v1, null, s11, 0, s2
	global_load_b64 v[27:28], v[0:1], off offset:280
	v_lshlrev_b16 v0, 3, v92
	v_lshlrev_b16 v1, 3, v96
	s_delay_alu instid0(VALU_DEP_2) | instskip(NEXT) | instid1(VALU_DEP_2)
	v_and_b32_e32 v0, 0xffff, v0
	v_and_b32_e32 v2, 0xffff, v1
	s_delay_alu instid0(VALU_DEP_2) | instskip(SKIP_2) | instid1(VALU_DEP_3)
	v_add_co_u32 v0, s2, s10, v0
	s_wait_alu 0xf1ff
	v_add_co_ci_u32_e64 v1, null, s11, 0, s2
	v_add_co_u32 v2, s2, s10, v2
	s_wait_alu 0xf1ff
	v_add_co_ci_u32_e64 v3, null, s11, 0, s2
	s_clause 0x1
	global_load_b64 v[21:22], v[0:1], off offset:280
	global_load_b64 v[17:18], v[2:3], off offset:280
	ds_load_2addr_b32 v[0:1], v70 offset0:124 offset1:187
	ds_load_2addr_b32 v[2:3], v71 offset0:108 offset1:171
	;; [unrolled: 1-line block ×9, first 2 shown]
	global_wb scope:SCOPE_SE
	s_wait_loadcnt_dscnt 0x0
	s_barrier_signal -1
	s_barrier_wait -1
	global_inv scope:SCOPE_SE
	ds_store_2addr_b32 v93, v100, v101 offset1:72
	ds_store_b32 v93, v81 offset:576
	ds_store_2addr_b32 v97, v80, v84 offset1:72
	scratch_store_b32 off, v97, off offset:96 ; 4-byte Folded Spill
	s_load_b64 s[2:3], s[0:1], 0x38
	v_lshrrev_b32_e32 v84, 16, v7
	v_lshrrev_b32_e32 v88, 16, v9
	v_lshrrev_b32_e32 v80, 16, v6
	v_lshrrev_b32_e32 v86, 16, v8
	v_lshrrev_b32_e32 v127, 16, v71
	v_mul_f16_e64 v85, v84, v172
	v_mul_f16_e64 v90, v88, v173
	;; [unrolled: 1-line block ×4, first 2 shown]
	s_delay_alu instid0(VALU_DEP_4)
	v_fma_f16 v85, v7, v19, -v85
	v_mul_f16_e64 v7, v7, v172
	v_fma_f16 v90, v9, v20, -v90
	v_mul_f16_e64 v9, v9, v173
	v_fma_f16 v81, v6, v23, -v81
	v_add_f16_e32 v94, v5, v85
	v_fmac_f16_e32 v7, v84, v19
	v_add_f16_e32 v84, v85, v90
	v_fmac_f16_e32 v9, v88, v20
	v_lshrrev_b32_e32 v88, 16, v5
	v_mul_f16_e64 v6, v6, v177
	v_fma_f16 v87, v8, v24, -v87
	v_fmac_f16_e32 v5, -0.5, v84
	v_add_f16_e32 v84, v7, v9
	v_add_f16_e32 v95, v88, v7
	v_sub_f16_e32 v7, v7, v9
	v_mul_f16_e64 v8, v8, v176
	v_fmac_f16_e32 v6, v80, v23
	v_fmac_f16_e32 v88, -0.5, v84
	v_sub_f16_e32 v80, v81, v87
	v_fmamk_f16 v84, v7, 0x3aee, v5
	v_fmac_f16_e32 v5, 0xbaee, v7
	v_sub_f16_e32 v7, v85, v90
	v_fmac_f16_e32 v8, v86, v24
	s_delay_alu instid0(VALU_DEP_2) | instskip(SKIP_2) | instid1(VALU_DEP_4)
	v_fmamk_f16 v85, v7, 0xbaee, v88
	v_fmac_f16_e32 v88, 0x3aee, v7
	v_add_f16_e32 v7, v81, v87
	v_add_f16_e32 v86, v6, v8
	s_delay_alu instid0(VALU_DEP_3) | instskip(SKIP_1) | instid1(VALU_DEP_4)
	v_pack_b32_f16 v5, v5, v88
	v_lshrrev_b32_e32 v88, 16, v4
	v_fma_f16 v7, -0.5, v7, v4
	v_add_f16_e32 v4, v4, v81
	s_delay_alu instid0(VALU_DEP_3) | instskip(SKIP_1) | instid1(VALU_DEP_3)
	v_add_f16_e32 v81, v88, v6
	v_sub_f16_e32 v6, v6, v8
	v_add_f16_e32 v4, v4, v87
	v_fmac_f16_e32 v88, -0.5, v86
	s_delay_alu instid0(VALU_DEP_4) | instskip(NEXT) | instid1(VALU_DEP_2)
	v_add_f16_e32 v8, v81, v8
	v_fmamk_f16 v72, v80, 0xbaee, v88
	v_fmac_f16_e32 v88, 0x3aee, v80
	s_delay_alu instid0(VALU_DEP_3) | instskip(SKIP_4) | instid1(VALU_DEP_4)
	v_pack_b32_f16 v4, v4, v8
	v_fmamk_f16 v8, v6, 0x3aee, v7
	v_fmac_f16_e32 v7, 0xbaee, v6
	v_and_b32_e32 v6, 0xffff, v75
	v_lshrrev_b32_e32 v75, 16, v3
	v_pack_b32_f16 v8, v8, v72
	ds_store_b32 v97, v89 offset:576
	ds_store_2addr_b32 v77, v4, v8 offset1:72
	v_mul_u32_u24_e32 v6, 0xd8, v6
	v_add_f16_e32 v4, v94, v90
	v_add_f16_e32 v8, v95, v9
	scratch_store_b32 off, v77, off offset:112 ; 4-byte Folded Spill
	v_add_lshl_u32 v81, v6, v78, 2
	v_pack_b32_f16 v6, v7, v88
	v_pack_b32_f16 v4, v4, v8
	;; [unrolled: 1-line block ×3, first 2 shown]
	ds_store_b32 v77, v6 offset:576
	ds_store_2addr_b32 v81, v4, v7 offset1:72
	v_lshrrev_b32_e32 v4, 16, v10
	v_lshrrev_b32_e32 v7, 16, v11
	ds_store_b32 v81, v5 offset:576
	v_lshrrev_b32_e32 v182, 16, v31
	v_lshrrev_b32_e32 v181, 16, v32
	s_delay_alu instid0(VALU_DEP_2) | instskip(SKIP_1) | instid1(VALU_DEP_2)
	v_mul_f16_e64 v6, v4, v182
	v_mul_f16_e64 v9, v10, v182
	v_fma_f16 v6, v10, v31, -v6
	s_delay_alu instid0(VALU_DEP_2) | instskip(SKIP_2) | instid1(VALU_DEP_2)
	v_fmac_f16_e32 v9, v4, v31
	v_lshrrev_b32_e32 v179, 16, v27
	v_lshrrev_b32_e32 v180, 16, v28
	v_mul_f16_e64 v8, v7, v179
	v_mul_f16_e64 v10, v11, v179
	s_delay_alu instid0(VALU_DEP_3) | instskip(NEXT) | instid1(VALU_DEP_3)
	v_mul_f16_e64 v77, v75, v180
	v_fma_f16 v8, v11, v27, -v8
	v_lshrrev_b32_e32 v11, 16, v2
	s_delay_alu instid0(VALU_DEP_3)
	v_fma_f16 v77, v3, v28, -v77
	v_mul_f16_e64 v3, v3, v180
	v_fmac_f16_e32 v10, v7, v27
	v_lshrrev_b32_e32 v7, 16, v1
	v_mul_f16_e64 v72, v11, v181
	v_add_f16_e32 v4, v8, v77
	v_fmac_f16_e32 v3, v75, v28
	s_delay_alu instid0(VALU_DEP_4) | instskip(NEXT) | instid1(VALU_DEP_4)
	v_add_f16_e32 v75, v7, v10
	v_fma_f16 v72, v2, v32, -v72
	v_mul_f16_e64 v2, v2, v181
	v_lshrrev_b32_e32 v191, 16, v21
	v_lshrrev_b32_e32 v190, 16, v22
	;; [unrolled: 1-line block ×4, first 2 shown]
	v_fmac_f16_e32 v2, v11, v32
	v_add_f16_e32 v11, v1, v8
	v_fmac_f16_e32 v1, -0.5, v4
	v_add_f16_e32 v4, v10, v3
	s_delay_alu instid0(VALU_DEP_4) | instskip(NEXT) | instid1(VALU_DEP_2)
	v_add_f16_e32 v80, v9, v2
	v_fmac_f16_e32 v7, -0.5, v4
	v_sub_f16_e32 v4, v10, v3
	s_delay_alu instid0(VALU_DEP_1) | instskip(SKIP_2) | instid1(VALU_DEP_1)
	v_fmamk_f16 v10, v4, 0x3aee, v1
	v_fmac_f16_e32 v1, 0xbaee, v4
	v_sub_f16_e32 v4, v8, v77
	v_fmamk_f16 v8, v4, 0xbaee, v7
	v_fmac_f16_e32 v7, 0x3aee, v4
	v_add_f16_e32 v4, v6, v72
	s_delay_alu instid0(VALU_DEP_2) | instskip(SKIP_1) | instid1(VALU_DEP_3)
	v_pack_b32_f16 v1, v1, v7
	v_lshrrev_b32_e32 v7, 16, v0
	v_fma_f16 v4, -0.5, v4, v0
	v_add_f16_e32 v0, v0, v6
	v_sub_f16_e32 v6, v6, v72
	s_delay_alu instid0(VALU_DEP_4) | instskip(SKIP_1) | instid1(VALU_DEP_4)
	v_add_f16_e32 v78, v7, v9
	v_sub_f16_e32 v9, v9, v2
	v_add_f16_e32 v0, v0, v72
	v_fmac_f16_e32 v7, -0.5, v80
	v_mad_u16 v72, 0xd8, v73, v74
	v_add_f16_e32 v2, v78, v2
                                        ; implicit-def: $vgpr80
	s_delay_alu instid0(VALU_DEP_3) | instskip(NEXT) | instid1(VALU_DEP_3)
	v_fmamk_f16 v73, v6, 0xbaee, v7
	v_and_b32_e32 v5, 0xffff, v72
	s_delay_alu instid0(VALU_DEP_3)
	v_pack_b32_f16 v0, v0, v2
	v_fmamk_f16 v2, v9, 0x3aee, v4
	v_fmac_f16_e32 v4, 0xbaee, v9
	v_fmac_f16_e32 v7, 0x3aee, v6
	v_lshlrev_b32_e32 v5, 2, v5
	v_lshrrev_b32_e32 v6, 16, v70
	v_pack_b32_f16 v2, v2, v73
	ds_store_2addr_b32 v5, v0, v2 offset1:72
	v_add_f16_e32 v2, v75, v3
	v_pack_b32_f16 v3, v4, v7
	v_mad_u16 v4, 0xd8, v82, v83
	v_add_f16_e32 v0, v11, v77
	v_add_co_u32 v77, s0, s8, v93
	ds_store_b32 v5, v3 offset:576
	v_and_b32_e32 v3, 0xffff, v4
	v_pack_b32_f16 v0, v0, v2
	v_pack_b32_f16 v2, v10, v8
	v_lshrrev_b32_e32 v4, 16, v14
	s_wait_alu 0xf1ff
	v_add_co_ci_u32_e64 v78, null, s9, 0, s0
	v_lshlrev_b32_e32 v10, 2, v3
	s_clause 0x1
	scratch_store_b32 off, v81, off offset:100
	scratch_store_b32 off, v5, off offset:108
	v_mul_f16_e64 v3, v12, v191
	v_mul_f16_e64 v5, v14, v190
	scratch_store_b32 off, v10, off offset:104 ; 4-byte Folded Spill
	ds_store_2addr_b32 v10, v0, v2 offset1:72
	v_lshrrev_b32_e32 v2, 16, v12
	v_mad_u16 v0, 0xd8, v91, v92
	v_fmac_f16_e32 v5, v4, v22
	v_mul_f16_e64 v4, v4, v190
	ds_store_b32 v10, v1 offset:576
	v_fmac_f16_e32 v3, v2, v21
	v_mul_f16_e64 v2, v2, v191
	v_and_b32_e32 v0, 0xffff, v0
	v_fma_f16 v4, v14, v22, -v4
                                        ; implicit-def: $vgpr82
	s_delay_alu instid0(VALU_DEP_4) | instskip(NEXT) | instid1(VALU_DEP_4)
	v_add_f16_e32 v7, v6, v3
	v_fma_f16 v2, v12, v21, -v2
	v_sub_f16_e32 v8, v3, v5
	v_add_f16_e32 v3, v3, v5
	v_lshlrev_b32_e32 v10, 2, v0
	v_add_f16_e32 v5, v7, v5
	v_add_f16_e32 v7, v70, v2
	;; [unrolled: 1-line block ×3, first 2 shown]
	v_sub_f16_e32 v2, v2, v4
	v_fmac_f16_e32 v6, -0.5, v3
	v_lshrrev_b32_e32 v0, 16, v13
	v_add_f16_e32 v7, v7, v4
	v_fma_f16 v4, -0.5, v9, v70
	v_mul_f16_e64 v9, v15, v192
	s_delay_alu instid0(VALU_DEP_4) | instskip(NEXT) | instid1(VALU_DEP_4)
	v_mul_f16_e64 v1, v0, v194
	v_pack_b32_f16 v3, v7, v5
	s_delay_alu instid0(VALU_DEP_4) | instskip(SKIP_4) | instid1(VALU_DEP_4)
	v_fmamk_f16 v5, v8, 0x3aee, v4
	v_fmamk_f16 v7, v2, 0xbaee, v6
	v_fmac_f16_e32 v4, 0xbaee, v8
	v_fma_f16 v1, v13, v17, -v1
	v_fmac_f16_e32 v6, 0x3aee, v2
	v_pack_b32_f16 v5, v5, v7
	s_delay_alu instid0(VALU_DEP_3) | instskip(SKIP_3) | instid1(VALU_DEP_2)
	v_add_f16_e32 v2, v71, v1
	ds_store_2addr_b32 v10, v3, v5 offset1:72
	v_lshrrev_b32_e32 v5, 16, v15
	v_mul_f16_e64 v3, v13, v194
	v_mul_f16_e64 v7, v5, v192
	s_delay_alu instid0(VALU_DEP_2) | instskip(SKIP_1) | instid1(VALU_DEP_3)
	v_fmac_f16_e32 v3, v0, v17
	v_fmac_f16_e32 v9, v5, v18
	v_fma_f16 v7, v15, v18, -v7
	s_delay_alu instid0(VALU_DEP_2) | instskip(NEXT) | instid1(VALU_DEP_2)
	v_add_f16_e32 v5, v3, v9
	v_add_f16_e32 v0, v1, v7
	v_sub_f16_e32 v1, v1, v7
	v_add_f16_e32 v72, v2, v7
	s_delay_alu instid0(VALU_DEP_3)
	v_fmac_f16_e32 v71, -0.5, v0
	v_pack_b32_f16 v0, v4, v6
	v_add_f16_e32 v4, v127, v3
	v_sub_f16_e32 v3, v3, v9
	v_fmac_f16_e32 v127, -0.5, v5
	ds_store_b32 v10, v0 offset:576
	v_and_b32_e32 v0, 0xffff, v96
	v_add_f16_e32 v123, v4, v9
	v_fmamk_f16 v73, v3, 0x3aee, v71
	v_fmamk_f16 v125, v1, 0xbaee, v127
	v_fmac_f16_e32 v71, 0xbaee, v3
	v_lshlrev_b32_e32 v5, 2, v0
	v_pack_b32_f16 v2, v72, v123
	v_fmac_f16_e32 v127, 0x3aee, v1
	v_pack_b32_f16 v4, v73, v125
	s_clause 0x1
	scratch_store_b32 off, v10, off offset:116
	scratch_store_b32 off, v5, off offset:120
	v_add_nc_u32_e32 v0, 0x1400, v5
	ds_store_2addr_b32 v0, v2, v4 offset0:16 offset1:88
	v_pack_b32_f16 v0, v71, v127
	ds_store_b32 v5, v0 offset:5760
	global_wb scope:SCOPE_SE
	s_wait_storecnt_dscnt 0x0
	s_wait_kmcnt 0x0
	s_barrier_signal -1
	s_barrier_wait -1
	global_inv scope:SCOPE_SE
	ds_load_2addr_b32 v[74:75], v69 offset0:46 offset1:136
	ds_load_2addr_b32 v[89:90], v30 offset0:96 offset1:159
	;; [unrolled: 1-line block ×5, first 2 shown]
	ds_load_b32 v217, v93 offset:5688
	ds_load_2addr_b32 v[14:15], v93 offset1:63
	ds_load_2addr_b32 v[8:9], v93 offset0:126 offset1:216
	ds_load_2addr_b32 v[91:92], v154 offset0:176 offset1:239
	;; [unrolled: 1-line block ×4, first 2 shown]
	s_and_saveexec_b32 s0, vcc_lo
	s_cbranch_execz .LBB0_3
; %bb.2:
	v_add_nc_u32_e32 v0, 0x280, v93
	v_add_nc_u32_e32 v1, 0x980, v93
	ds_load_2addr_b32 v[79:80], v35 offset0:29 offset1:245
	ds_load_b32 v132, v93 offset:5940
	ds_load_2addr_b32 v[72:73], v0 offset0:29 offset1:245
	ds_load_2addr_b32 v[81:82], v1 offset0:13 offset1:229
	s_wait_dscnt 0x3
	v_lshrrev_b32_e32 v139, 16, v79
	v_lshrrev_b32_e32 v138, 16, v80
	s_wait_dscnt 0x2
	v_lshrrev_b32_e32 v136, 16, v132
	s_wait_dscnt 0x0
	v_mov_b32_e32 v71, v81
	v_lshrrev_b32_e32 v123, 16, v72
	v_lshrrev_b32_e32 v125, 16, v73
	;; [unrolled: 1-line block ×4, first 2 shown]
.LBB0_3:
	s_wait_alu 0xfffe
	s_or_b32 exec_lo, exec_lo, s0
	v_mad_co_u64_u32 v[12:13], null, v128, 24, s[10:11]
	s_wait_dscnt 0x2
	v_lshrrev_b32_e32 v76, 16, v91
	v_lshrrev_b32_e32 v95, 16, v92
	;; [unrolled: 1-line block ×6, first 2 shown]
	s_clause 0x1
	global_load_b64 v[35:36], v[12:13], off offset:872
	global_load_b128 v[4:7], v[12:13], off offset:856
	v_lshrrev_b32_e32 v158, 16, v14
	v_lshrrev_b32_e32 v238, 16, v15
	s_wait_loadcnt 0x0
	v_lshrrev_b32_e32 v169, 16, v5
	s_delay_alu instid0(VALU_DEP_1) | instskip(SKIP_1) | instid1(VALU_DEP_2)
	v_mul_f16_e64 v0, v76, v169
	v_mul_f16_e64 v96, v91, v169
	v_fma_f16 v94, v91, v5, -v0
	s_clause 0x1
	global_load_b64 v[29:30], v[12:13], off offset:2384
	global_load_b128 v[0:3], v[12:13], off offset:2368
	v_fmac_f16_e32 v96, v76, v5
	v_lshrrev_b32_e32 v76, 16, v9
	s_wait_loadcnt 0x0
	v_lshrrev_b32_e32 v97, 16, v1
	v_lshrrev_b32_e32 v91, 16, v3
	s_delay_alu instid0(VALU_DEP_2) | instskip(SKIP_1) | instid1(VALU_DEP_3)
	v_mul_f16_e32 v81, v95, v97
	v_mul_f16_e64 v227, v92, v97
	v_mul_f16_e64 v231, v90, v91
	s_delay_alu instid0(VALU_DEP_3) | instskip(SKIP_1) | instid1(VALU_DEP_4)
	v_fma_f16 v226, v92, v1, -v81
	v_lshrrev_b32_e32 v92, 16, v7
	v_fmac_f16_e64 v227, v95, v1
	s_delay_alu instid0(VALU_DEP_4) | instskip(NEXT) | instid1(VALU_DEP_3)
	v_fmac_f16_e64 v231, v103, v3
	v_mul_f16_e32 v81, v100, v92
	v_mul_f16_e32 v105, v89, v92
	s_delay_alu instid0(VALU_DEP_2) | instskip(SKIP_2) | instid1(VALU_DEP_4)
	v_fma_f16 v101, v89, v7, -v81
	v_mul_f16_e32 v81, v103, v91
	v_lshrrev_b32_e32 v89, 16, v36
	v_fmac_f16_e32 v105, v100, v7
	s_delay_alu instid0(VALU_DEP_3) | instskip(SKIP_1) | instid1(VALU_DEP_1)
	v_fma_f16 v229, v90, v3, -v81
	v_lshrrev_b32_e32 v90, 16, v87
	v_mul_f16_e32 v81, v90, v89
	s_delay_alu instid0(VALU_DEP_1) | instskip(SKIP_1) | instid1(VALU_DEP_1)
	v_fma_f16 v108, v87, v36, -v81
	v_lshrrev_b32_e32 v81, 16, v30
	v_mul_f16_e32 v110, v109, v81
	v_mul_f16_e64 v143, v88, v81
	s_delay_alu instid0(VALU_DEP_2) | instskip(SKIP_2) | instid1(VALU_DEP_4)
	v_fma_f16 v234, v88, v30, -v110
	v_mul_f16_e32 v110, v87, v89
	v_lshrrev_b32_e32 v87, 16, v4
	v_fmac_f16_e64 v143, v109, v30
	s_delay_alu instid0(VALU_DEP_3) | instskip(NEXT) | instid1(VALU_DEP_3)
	v_fmac_f16_e32 v110, v90, v36
	v_mul_f16_e32 v88, v9, v87
	v_lshrrev_b32_e32 v90, 16, v11
	s_delay_alu instid0(VALU_DEP_2) | instskip(SKIP_1) | instid1(VALU_DEP_2)
	v_fmac_f16_e32 v88, v76, v4
	v_mul_f16_e32 v76, v76, v87
	v_add_f16_e32 v95, v88, v110
	v_sub_f16_e32 v100, v88, v110
	v_lshrrev_b32_e32 v88, 16, v35
	s_delay_alu instid0(VALU_DEP_4) | instskip(NEXT) | instid1(VALU_DEP_2)
	v_fma_f16 v9, v9, v4, -v76
	v_mul_f16_e32 v103, v11, v88
	s_delay_alu instid0(VALU_DEP_2) | instskip(SKIP_1) | instid1(VALU_DEP_3)
	v_add_f16_e32 v76, v9, v108
	v_sub_f16_e32 v9, v9, v108
	v_fmac_f16_e32 v103, v90, v35
	v_mul_f16_e32 v90, v90, v88
	s_delay_alu instid0(VALU_DEP_1) | instskip(SKIP_1) | instid1(VALU_DEP_2)
	v_fma_f16 v11, v11, v35, -v90
	v_lshrrev_b32_e32 v90, 16, v6
	v_add_f16_e32 v108, v94, v11
	v_sub_f16_e32 v11, v94, v11
	v_add_f16_e32 v94, v96, v103
	v_sub_f16_e32 v96, v96, v103
	v_lshrrev_b32_e32 v103, 16, v75
	v_mul_f16_e32 v109, v75, v90
	v_sub_f16_e32 v110, v108, v76
	v_sub_f16_e32 v120, v94, v95
	s_delay_alu instid0(VALU_DEP_3) | instskip(SKIP_1) | instid1(VALU_DEP_1)
	v_fmac_f16_e32 v109, v103, v6
	v_mul_f16_e32 v103, v103, v90
	v_fma_f16 v75, v75, v6, -v103
	s_delay_alu instid0(VALU_DEP_1)
	v_add_f16_e32 v103, v75, v101
	v_sub_f16_e32 v75, v101, v75
	v_add_f16_e32 v101, v109, v105
	v_sub_f16_e32 v105, v105, v109
	v_add_f16_e32 v109, v108, v76
	v_sub_f16_e32 v76, v76, v103
	v_sub_f16_e32 v108, v103, v108
	v_sub_f16_e64 v145, v75, v11
	v_sub_f16_e64 v146, v105, v96
	v_add_f16_e32 v103, v103, v109
	v_add_f16_e32 v109, v94, v95
	v_sub_f16_e32 v95, v95, v101
	v_sub_f16_e32 v94, v101, v94
	v_mul_f16_e32 v76, 0x3a52, v76
	v_add_f16_e32 v14, v14, v103
	v_add_f16_e32 v101, v101, v109
	;; [unrolled: 1-line block ×3, first 2 shown]
	v_sub_f16_e32 v75, v9, v75
	v_sub_f16_e32 v11, v11, v9
	v_mul_f16_e32 v95, 0x3a52, v95
	s_delay_alu instid0(VALU_DEP_4) | instskip(SKIP_3) | instid1(VALU_DEP_3)
	v_add_f16_e32 v9, v109, v9
	v_add_f16_e32 v109, v105, v96
	v_sub_f16_e32 v105, v100, v105
	v_sub_f16_e32 v96, v96, v100
	v_add_f16_e32 v100, v109, v100
	v_mul_f16_e32 v109, 0x2b26, v108
	v_fmamk_f16 v108, v108, 0x2b26, v76
	v_fma_f16 v76, v110, 0xb9e0, -v76
	s_delay_alu instid0(VALU_DEP_3) | instskip(SKIP_3) | instid1(VALU_DEP_3)
	v_fma_f16 v109, v110, 0x39e0, -v109
	v_mul_f16_e32 v110, 0x2b26, v94
	v_fmamk_f16 v94, v94, 0x2b26, v95
	v_fma_f16 v95, v120, 0xb9e0, -v95
	v_fma_f16 v147, v120, 0x39e0, -v110
	v_mul_f16_e64 v110, 0xb846, v145
	v_mul_f16_e32 v120, 0x3b00, v11
	s_delay_alu instid0(VALU_DEP_2) | instskip(SKIP_1) | instid1(VALU_DEP_3)
	v_fma_f16 v11, v11, 0x3b00, -v110
	v_fma_f16 v145, 0x3574, v75, v110
	v_fma_f16 v75, v75, 0xb574, -v120
	v_mul_f16_e64 v110, 0xb846, v146
	v_mul_f16_e32 v120, 0x3b00, v96
	v_fmac_f16_e32 v11, 0x370e, v9
	v_fmac_f16_e64 v145, 0x370e, v9
	v_fmac_f16_e32 v75, 0x370e, v9
	v_fma_f16 v148, 0x3574, v105, v110
	v_fma_f16 v105, v105, 0xb574, -v120
	v_lshrrev_b32_e32 v120, 16, v0
	v_fma_f16 v146, v96, 0x3b00, -v110
	s_wait_dscnt 0x1
	v_lshrrev_b32_e32 v96, 16, v85
	s_wait_dscnt 0x0
	v_lshrrev_b32_e32 v110, 16, v69
	v_add_f16_e64 v9, v158, v101
	v_mul_f16_e64 v149, v85, v120
	v_fmac_f16_e64 v148, 0x370e, v100
	v_mul_f16_e64 v150, v96, v120
	v_fmac_f16_e64 v146, 0x370e, v100
	v_fmac_f16_e32 v105, 0x370e, v100
	v_fmac_f16_e64 v149, v96, v0
	v_lshrrev_b32_e32 v96, 16, v29
	v_fma_f16 v85, v85, v0, -v150
	v_fmamk_f16 v100, v101, 0xbcab, v9
	v_pack_b32_f16 v9, v14, v9
	v_lshrrev_b32_e32 v158, 16, v70
	v_mul_f16_e64 v151, v69, v96
	v_mul_f16_e64 v152, v110, v96
	v_add_f16_e64 v150, v85, v234
	v_add_f16_e32 v94, v94, v100
	v_add_f16_e32 v95, v95, v100
	v_fmac_f16_e64 v151, v110, v29
	v_lshrrev_b32_e32 v110, 16, v2
	v_fma_f16 v69, v69, v29, -v152
	s_delay_alu instid0(VALU_DEP_2) | instskip(NEXT) | instid1(VALU_DEP_2)
	v_mul_f16_e64 v156, v83, v110
	v_add_f16_e64 v152, v226, v69
	v_sub_f16_e64 v69, v226, v69
	s_delay_alu instid0(VALU_DEP_3) | instskip(SKIP_1) | instid1(VALU_DEP_4)
	v_fmac_f16_e64 v156, v155, v2
	v_mul_f16_e64 v155, v155, v110
	v_add_f16_e64 v157, v152, v150
	s_delay_alu instid0(VALU_DEP_2) | instskip(NEXT) | instid1(VALU_DEP_1)
	v_fma_f16 v83, v83, v2, -v155
	v_add_f16_e64 v155, v83, v229
	v_sub_f16_e64 v83, v229, v83
	s_delay_alu instid0(VALU_DEP_2) | instskip(NEXT) | instid1(VALU_DEP_1)
	v_add_f16_e64 v157, v155, v157
	v_add_f16_e64 v104, v15, v157
	v_fmamk_f16 v15, v103, 0xbcab, v14
	s_delay_alu instid0(VALU_DEP_1)
	v_add_f16_e32 v14, v108, v15
	v_add_f16_e32 v101, v109, v15
	v_add_f16_e32 v15, v76, v15
	v_add_f16_e64 v76, v147, v100
	v_sub_f16_e64 v108, v94, v145
	v_add_f16_e64 v94, v145, v94
	v_sub_f16_e64 v100, v101, v146
	v_add_f16_e64 v101, v146, v101
	v_add_f16_e32 v103, v11, v76
	v_sub_f16_e32 v11, v76, v11
	v_add_f16_e32 v76, v105, v15
	v_sub_f16_e32 v15, v15, v105
	v_sub_f16_e32 v105, v95, v75
	v_add_f16_e32 v75, v75, v95
	v_add_f16_e64 v95, v148, v14
	v_sub_f16_e64 v14, v14, v148
	v_pack_b32_f16 v100, v100, v103
	v_pack_b32_f16 v76, v76, v105
	v_pack_b32_f16 v11, v101, v11
	v_pack_b32_f16 v95, v95, v108
	v_pack_b32_f16 v15, v15, v75
	v_pack_b32_f16 v14, v14, v94
	ds_store_b32 v93, v95 offset:864
	ds_store_b32 v93, v76 offset:1728
	;; [unrolled: 1-line block ×6, first 2 shown]
	v_add_f16_e64 v11, v149, v143
	v_add_f16_e64 v94, v227, v151
	;; [unrolled: 1-line block ×3, first 2 shown]
	v_lshrrev_b32_e32 v145, 16, v84
	v_lshrrev_b32_e32 v147, 16, v10
	s_delay_alu instid0(VALU_DEP_4) | instskip(NEXT) | instid1(VALU_DEP_1)
	v_add_f16_e32 v14, v94, v11
	v_add_f16_e32 v100, v95, v14
	s_delay_alu instid0(VALU_DEP_1) | instskip(NEXT) | instid1(VALU_DEP_1)
	v_add_f16_e64 v101, v238, v100
	v_pack_b32_f16 v14, v104, v101
	v_fma_f16 v104, 0xbcab, v157, v104
	v_fmamk_f16 v100, v100, 0xbcab, v101
	ds_store_2addr_b32 v93, v9, v14 offset1:63
	s_clause 0x1
	global_load_b64 v[75:76], v[12:13], off offset:3896
	global_load_b128 v[12:15], v[12:13], off offset:3880
	v_lshrrev_b32_e32 v9, 16, v86
	s_wait_loadcnt 0x1
	v_lshrrev_b32_e32 v239, 16, v75
	s_wait_loadcnt 0x0
	v_lshrrev_b32_e32 v105, 16, v12
	v_lshrrev_b32_e32 v240, 16, v13
	;; [unrolled: 1-line block ×4, first 2 shown]
	v_mul_f16_e64 v111, v158, v239
	v_mul_f16_e32 v103, v9, v105
	s_delay_alu instid0(VALU_DEP_4) | instskip(NEXT) | instid1(VALU_DEP_4)
	v_mul_f16_e64 v146, v145, v253
	v_mul_f16_e64 v148, v147, v238
	s_delay_alu instid0(VALU_DEP_4) | instskip(NEXT) | instid1(VALU_DEP_4)
	v_fma_f16 v111, v70, v75, -v111
	v_fma_f16 v108, v86, v12, -v103
	v_lshrrev_b32_e32 v103, 16, v74
	v_mul_f16_e32 v86, v86, v105
	v_fma_f16 v146, v84, v14, -v146
	v_mul_f16_e64 v84, v84, v253
	v_fma_f16 v148, v10, v15, -v148
	v_mul_f16_e64 v109, v103, v240
	v_mul_f16_e64 v10, v10, v238
	v_fmac_f16_e32 v86, v9, v12
	v_lshrrev_b32_e32 v9, 16, v217
	v_mul_f16_e64 v70, v70, v239
	v_fma_f16 v109, v74, v13, -v109
	v_mul_f16_e64 v74, v74, v240
	v_fmac_f16_e64 v84, v145, v14
	v_fmac_f16_e64 v10, v147, v15
	;; [unrolled: 1-line block ×3, first 2 shown]
	s_delay_alu instid0(VALU_DEP_4) | instskip(SKIP_1) | instid1(VALU_DEP_1)
	v_fmac_f16_e32 v74, v103, v13
	v_lshrrev_b32_e32 v103, 16, v76
	v_mul_f16_e64 v145, v9, v103
	v_mul_f16_e64 v147, v217, v103
	s_delay_alu instid0(VALU_DEP_2) | instskip(NEXT) | instid1(VALU_DEP_2)
	v_fma_f16 v145, v217, v76, -v145
	v_fmac_f16_e64 v147, v9, v76
	v_sub_f16_e64 v9, v85, v234
	v_sub_f16_e64 v85, v149, v143
	;; [unrolled: 1-line block ×4, first 2 shown]
	v_add_f16_e64 v151, v108, v145
	v_sub_f16_e64 v108, v108, v145
	v_add_f16_e64 v145, v86, v147
	v_sub_f16_e64 v86, v86, v147
	v_add_f16_e64 v147, v109, v111
	v_sub_f16_e32 v109, v109, v111
	v_add_f16_e32 v111, v74, v70
	v_sub_f16_e32 v74, v74, v70
	v_add_f16_e64 v70, v146, v148
	v_sub_f16_e64 v146, v148, v146
	v_add_f16_e64 v148, v84, v10
	v_sub_f16_e32 v10, v10, v84
	v_sub_f16_e64 v84, v152, v150
	v_sub_f16_e64 v150, v150, v155
	;; [unrolled: 1-line block ×4, first 2 shown]
	v_sub_f16_e32 v11, v11, v95
	v_sub_f16_e32 v94, v95, v94
	v_add_f16_e32 v95, v83, v69
	v_sub_f16_e64 v156, v83, v69
	v_sub_f16_e32 v83, v9, v83
	v_sub_f16_e32 v69, v69, v9
	v_sub_f16_e64 v158, v149, v143
	v_add_f16_e32 v9, v95, v9
	v_add_f16_e64 v95, v149, v143
	v_sub_f16_e64 v149, v85, v149
	v_sub_f16_e64 v143, v143, v85
	v_mul_f16_e32 v11, 0x3a52, v11
	v_lshrrev_b32_e32 v217, 16, v8
	v_add_f16_e32 v85, v95, v85
	v_mul_f16_e64 v95, 0x3a52, v150
	v_mul_f16_e64 v150, 0x2b26, v152
	s_delay_alu instid0(VALU_DEP_2) | instskip(NEXT) | instid1(VALU_DEP_2)
	v_fma_f16 v152, 0x2b26, v152, v95
	v_fma_f16 v150, v84, 0x39e0, -v150
	v_fma_f16 v84, v84, 0xb9e0, -v95
	v_mul_f16_e32 v95, 0x2b26, v94
	v_fmamk_f16 v94, v94, 0x2b26, v11
	v_fma_f16 v11, v155, 0xb9e0, -v11
	s_delay_alu instid0(VALU_DEP_4) | instskip(NEXT) | instid1(VALU_DEP_4)
	v_add_f16_e32 v84, v84, v104
	v_fma_f16 v95, v155, 0x39e0, -v95
	v_mul_f16_e64 v155, 0xb846, v156
	v_mul_f16_e64 v156, 0x3b00, v69
	v_add_f16_e32 v11, v11, v100
	v_add_f16_e32 v94, v94, v100
	;; [unrolled: 1-line block ×3, first 2 shown]
	v_fma_f16 v69, v69, 0x3b00, -v155
	v_fma_f16 v155, 0x3574, v83, v155
	v_fma_f16 v83, v83, 0xb574, -v156
	v_mul_f16_e64 v156, 0xb846, v158
	v_mul_f16_e64 v158, 0x3b00, v143
	v_fmac_f16_e32 v69, 0x370e, v9
	v_fmac_f16_e64 v155, 0x370e, v9
	v_fmac_f16_e32 v83, 0x370e, v9
	v_fma_f16 v143, v143, 0x3b00, -v156
	v_fma_f16 v156, 0x3574, v149, v156
	v_fma_f16 v149, v149, 0xb574, -v158
	v_add_f16_e64 v158, v147, v151
	v_add_f16_e64 v9, v111, v145
	v_fmac_f16_e64 v143, 0x370e, v85
	v_fmac_f16_e64 v156, 0x370e, v85
	;; [unrolled: 1-line block ×3, first 2 shown]
	v_add_f16_e64 v158, v70, v158
	v_add_f16_e64 v9, v148, v9
	s_delay_alu instid0(VALU_DEP_2) | instskip(NEXT) | instid1(VALU_DEP_2)
	v_add_f16_e64 v8, v8, v158
	v_add_f16_e64 v85, v217, v9
	s_delay_alu instid0(VALU_DEP_2) | instskip(NEXT) | instid1(VALU_DEP_2)
	v_fma_f16 v101, 0xbcab, v158, v8
	v_fma_f16 v157, 0xbcab, v9, v85
	v_pack_b32_f16 v8, v8, v85
	v_add_f16_e64 v85, v150, v104
	v_add_f16_e64 v9, v152, v104
	v_add_f16_e32 v104, v69, v95
	v_sub_f16_e32 v69, v95, v69
	v_add_f16_e64 v95, v149, v84
	v_sub_f16_e64 v100, v85, v143
	v_add_f16_e64 v85, v143, v85
	v_sub_f16_e64 v84, v84, v149
	v_sub_f16_e64 v143, v11, v83
	v_add_f16_e32 v11, v83, v11
	v_add_f16_e64 v83, v156, v9
	v_sub_f16_e64 v9, v9, v156
	v_sub_f16_e64 v149, v94, v155
	v_add_f16_e64 v94, v155, v94
	v_pack_b32_f16 v11, v84, v11
	v_sub_f16_e64 v84, v151, v70
	v_pack_b32_f16 v95, v95, v143
	v_pack_b32_f16 v83, v83, v149
	;; [unrolled: 1-line block ×3, first 2 shown]
	v_sub_f16_e64 v94, v70, v147
	v_sub_f16_e64 v70, v145, v148
	;; [unrolled: 1-line block ×4, first 2 shown]
	v_mul_f16_e32 v84, 0x3a52, v84
	v_pack_b32_f16 v100, v100, v104
	v_pack_b32_f16 v69, v85, v69
	v_sub_f16_e64 v104, v148, v111
	v_add_f16_e64 v85, v146, v109
	v_sub_f16_e64 v146, v108, v146
	v_add_f16_e64 v148, v10, v74
	v_sub_f16_e64 v150, v86, v10
	v_mul_f16_e64 v143, 0xb846, v143
	v_mul_f16_e64 v155, 0x3a52, v70
	v_mul_f16_e64 v149, 0xb846, v149
	v_fmamk_f16 v10, v94, 0x2b26, v84
	v_add_f16_e64 v152, v85, v108
	v_add_f16_e64 v148, v148, v86
	v_fma_f16 v156, 0x3574, v146, v143
	v_fma_f16 v158, 0x3574, v150, v149
	v_add_f16_e64 v217, v10, v101
	v_fma_f16 v10, 0x2b26, v104, v155
	v_sub_f16_e64 v147, v147, v151
	v_fmac_f16_e64 v156, 0x370e, v152
	v_fmac_f16_e64 v158, 0x370e, v148
	v_sub_f16_e64 v111, v111, v145
	v_add_f16_e64 v226, v10, v157
	v_sub_f16_e32 v108, v109, v108
	v_mul_f16_e32 v94, 0x2b26, v94
	v_add_f16_e64 v10, v158, v217
	v_mul_f16_e32 v104, 0x2b26, v104
	v_sub_f16_e64 v70, v226, v156
	v_fma_f16 v84, v147, 0xb9e0, -v84
	v_fma_f16 v94, v147, 0x39e0, -v94
	v_sub_f16_e32 v74, v74, v86
	v_fma_f16 v104, v111, 0x39e0, -v104
	v_pack_b32_f16 v10, v10, v70
	ds_store_b32 v93, v69 offset:3708
	ds_store_b32 v93, v11 offset:4572
	;; [unrolled: 1-line block ×6, first 2 shown]
	ds_store_2addr_b32 v154, v83, v10 offset0:23 offset1:86
	v_subrev_nc_u32_e32 v8, 27, v128
	v_add_f16_e32 v94, v94, v101
	v_add_f16_e32 v84, v84, v101
	v_add_f16_e64 v101, v104, v157
	v_fma_f16 v111, v111, 0xb9e0, -v155
	v_cndmask_b32_e32 v8, v8, v237, vcc_lo
	s_delay_alu instid0(VALU_DEP_2) | instskip(NEXT) | instid1(VALU_DEP_2)
	v_add_f16_e64 v104, v111, v157
	v_mul_i32_i24_e32 v9, 24, v8
	v_mul_hi_i32_i24_e32 v10, 24, v8
	s_delay_alu instid0(VALU_DEP_2) | instskip(SKIP_1) | instid1(VALU_DEP_2)
	v_add_co_u32 v8, s0, s10, v9
	s_wait_alu 0xf1ff
	v_add_co_ci_u32_e64 v9, s0, s11, v10, s0
	s_clause 0x1
	global_load_b64 v[69:70], v[8:9], off offset:872
	global_load_b128 v[8:11], v[8:9], off offset:856
	s_wait_loadcnt 0x0
	v_lshrrev_b32_e32 v81, 16, v9
	s_delay_alu instid0(VALU_DEP_1) | instskip(NEXT) | instid1(VALU_DEP_1)
	v_mul_f16_e32 v83, v127, v81
	v_fma_f16 v83, v71, v9, -v83
	v_mul_f16_e32 v71, v71, v81
	v_lshrrev_b32_e32 v81, 16, v10
	s_delay_alu instid0(VALU_DEP_2) | instskip(NEXT) | instid1(VALU_DEP_2)
	v_fmac_f16_e32 v71, v127, v9
	v_mul_f16_e64 v85, v142, v81
	v_fma_f16 v127, v108, 0x3b00, -v143
	v_mul_f16_e32 v108, 0x3b00, v108
	s_delay_alu instid0(VALU_DEP_3) | instskip(SKIP_4) | instid1(VALU_DEP_4)
	v_fma_f16 v95, v82, v10, -v85
	v_mul_f16_e32 v82, v82, v81
	v_lshrrev_b32_e32 v81, 16, v11
	v_fmac_f16_e64 v127, 0x370e, v152
	v_fma_f16 v108, v146, 0xb574, -v108
	v_fmac_f16_e64 v82, v142, v10
	s_delay_alu instid0(VALU_DEP_4) | instskip(SKIP_1) | instid1(VALU_DEP_4)
	v_mul_f16_e64 v85, v139, v81
	v_add_f16_e64 v142, v156, v226
	v_fmac_f16_e64 v108, 0x370e, v152
	s_delay_alu instid0(VALU_DEP_3) | instskip(SKIP_3) | instid1(VALU_DEP_3)
	v_fma_f16 v100, v79, v11, -v85
	v_lshrrev_b32_e32 v85, 16, v69
	v_mul_f16_e32 v79, v79, v81
	v_lshrrev_b32_e32 v81, 16, v70
	v_mul_f16_e64 v154, v138, v85
	s_delay_alu instid0(VALU_DEP_3) | instskip(NEXT) | instid1(VALU_DEP_3)
	v_fmac_f16_e64 v79, v139, v11
	v_mul_f16_e64 v86, v136, v81
	v_mul_f16_e64 v109, v132, v81
	v_lshrrev_b32_e32 v81, 16, v8
	v_fma_f16 v154, v80, v69, -v154
	v_mul_f16_e32 v80, v80, v85
	v_fma_f16 v86, v132, v70, -v86
	v_fmac_f16_e64 v109, v136, v70
	v_fma_f16 v132, v74, 0x3b00, -v149
	v_mul_f16_e32 v74, 0x3b00, v74
	v_fmac_f16_e64 v80, v138, v69
	v_add_f16_e64 v138, v127, v101
	v_sub_f16_e32 v101, v101, v127
	v_mul_f16_e32 v127, v73, v81
	v_fmac_f16_e64 v132, 0x370e, v148
	v_fma_f16 v74, v150, 0xb574, -v74
	s_delay_alu instid0(VALU_DEP_3) | instskip(SKIP_1) | instid1(VALU_DEP_4)
	v_fmac_f16_e32 v127, v125, v8
	v_mul_f16_e32 v125, v125, v81
	v_sub_f16_e64 v111, v94, v132
	v_add_f16_e64 v94, v132, v94
	v_add_f16_e64 v132, v71, v80
	v_sub_f16_e32 v71, v71, v80
	v_fma_f16 v73, v73, v8, -v125
	v_add_f16_e32 v80, v95, v100
	v_sub_f16_e32 v95, v100, v95
	v_add_f16_e32 v100, v82, v79
	v_sub_f16_e32 v79, v79, v82
	;; [unrolled: 2-line block ×4, first 2 shown]
	v_add_f16_e64 v127, v83, v154
	v_sub_f16_e64 v83, v83, v154
	v_sub_f16_e64 v146, v79, v71
	;; [unrolled: 1-line block ×3, first 2 shown]
	v_fmac_f16_e64 v74, 0x370e, v148
	v_add_f16_e32 v82, v127, v125
	v_sub_f16_e64 v136, v127, v125
	v_sub_f16_e32 v125, v125, v80
	v_sub_f16_e32 v127, v80, v127
	v_sub_f16_e64 v145, v95, v83
	v_add_f16_e32 v80, v80, v82
	v_add_f16_e64 v82, v132, v86
	v_sub_f16_e32 v86, v86, v100
	v_sub_f16_e64 v132, v100, v132
	v_add_f16_e64 v139, v74, v84
	v_sub_f16_e32 v74, v84, v74
	v_add_f16_e32 v82, v100, v82
	v_add_f16_e32 v100, v95, v83
	v_sub_f16_e32 v95, v73, v95
	v_sub_f16_e32 v83, v83, v73
	v_mul_f16_e32 v86, 0x3a52, v86
	v_add_f16_e32 v123, v123, v82
	v_add_f16_e32 v100, v100, v73
	;; [unrolled: 1-line block ×3, first 2 shown]
	v_sub_f16_e32 v79, v109, v79
	v_sub_f16_e32 v71, v71, v109
	v_fma_f16 v149, 0x2b26, v132, v86
	v_sub_f16_e32 v84, v104, v108
	v_add_f16_e32 v109, v73, v109
	v_add_f16_e32 v73, v72, v80
	v_mul_f16_e32 v72, 0x3a52, v125
	v_mul_f16_e32 v125, 0x2b26, v127
	v_fma_f16 v86, v143, 0xb9e0, -v86
	v_add_f16_e32 v104, v108, v104
	v_sub_f16_e64 v108, v217, v158
	v_lshlrev_b32_e32 v217, 2, v107
	v_fma_f16 v148, v136, 0x39e0, -v125
	v_mul_f16_e64 v125, 0x2b26, v132
	v_mul_f16_e64 v132, 0x3b00, v83
	v_fma_f16 v147, 0x2b26, v127, v72
	v_fma_f16 v72, v136, 0xb9e0, -v72
	v_pack_b32_f16 v74, v74, v104
	v_fma_f16 v150, v143, 0x39e0, -v125
	v_mul_f16_e64 v125, 0xb846, v145
	s_delay_alu instid0(VALU_DEP_1)
	v_fma_f16 v83, v83, 0x3b00, -v125
	v_fmamk_f16 v127, v95, 0x3574, v125
	v_fma_f16 v125, v95, 0xb574, -v132
	v_mul_f16_e64 v95, 0xb846, v146
	v_mul_f16_e64 v132, 0x3b00, v71
	v_fmac_f16_e32 v83, 0x370e, v100
	v_fmac_f16_e32 v127, 0x370e, v100
	;; [unrolled: 1-line block ×3, first 2 shown]
	v_fma_f16 v136, 0x3574, v79, v95
	v_fma_f16 v132, v79, 0xb574, -v132
	v_fmamk_f16 v79, v80, 0xbcab, v73
	v_fma_f16 v71, v71, 0x3b00, -v95
	s_delay_alu instid0(VALU_DEP_4) | instskip(NEXT) | instid1(VALU_DEP_4)
	v_fmac_f16_e64 v136, 0x370e, v109
	v_fmac_f16_e64 v132, 0x370e, v109
	s_delay_alu instid0(VALU_DEP_4)
	v_add_f16_e64 v226, v72, v79
	v_fmamk_f16 v72, v82, 0xbcab, v123
	v_add_f16_e64 v143, v147, v79
	v_add_f16_e64 v80, v148, v79
	v_fmac_f16_e32 v71, 0x370e, v109
	v_pack_b32_f16 v82, v94, v101
	v_add_f16_e64 v79, v150, v72
	v_add_f16_e64 v227, v149, v72
	;; [unrolled: 1-line block ×3, first 2 shown]
	v_pack_b32_f16 v72, v139, v84
	v_lshlrev_b32_e32 v139, 3, v112
	v_add_f16_e64 v154, v83, v79
	v_sub_f16_e32 v86, v79, v83
	v_pack_b32_f16 v79, v111, v138
	v_pack_b32_f16 v83, v108, v142
	ds_store_b32 v93, v72 offset:2232
	ds_store_b32 v93, v79 offset:3096
	;; [unrolled: 1-line block ×5, first 2 shown]
	v_lshlrev_b32_e32 v142, 3, v235
	v_lshlrev_b32_e32 v138, 3, v230
	v_sub_f16_e32 v74, v80, v71
	v_add_f16_e32 v71, v71, v80
	v_sub_f16_e64 v72, v226, v132
	v_add_f16_e64 v230, v125, v229
	v_sub_f16_e64 v235, v143, v136
	v_add_f16_e64 v237, v127, v227
	s_and_saveexec_b32 s0, vcc_lo
	s_cbranch_execz .LBB0_5
; %bb.4:
	v_sub_f16_e64 v79, v227, v127
	v_add_f16_e64 v80, v136, v143
	v_sub_f16_e64 v82, v229, v125
	v_add_f16_e64 v83, v132, v226
	v_perm_b32 v73, v123, v73, 0x5040100
	v_add_nc_u32_e32 v84, 0x980, v93
	v_pack_b32_f16 v79, v80, v79
	v_add_nc_u32_e32 v80, 0x280, v93
	v_pack_b32_f16 v82, v83, v82
	v_perm_b32 v83, v154, v74, 0x5040100
	v_perm_b32 v94, v86, v71, 0x5040100
	;; [unrolled: 1-line block ×3, first 2 shown]
	v_add_nc_u32_e32 v100, 0x1000, v93
	v_perm_b32 v101, v237, v235, 0x5040100
	ds_store_2addr_b32 v80, v73, v79 offset0:29 offset1:245
	ds_store_2addr_b32 v84, v82, v83 offset0:13 offset1:229
	;; [unrolled: 1-line block ×3, first 2 shown]
	ds_store_b32 v93, v101 offset:5940
.LBB0_5:
	s_wait_alu 0xfffe
	s_or_b32 exec_lo, exec_lo, s0
	global_wb scope:SCOPE_SE
	s_wait_dscnt 0x0
	s_barrier_signal -1
	s_barrier_wait -1
	global_inv scope:SCOPE_SE
	global_load_b32 v73, v[77:78], off offset:6048
	v_lshlrev_b32_e32 v79, 2, v128
	s_add_nc_u64 s[0:1], s[8:9], 0x17a0
	s_clause 0x6
	global_load_b32 v80, v79, s[0:1] offset:252
	global_load_b32 v82, v79, s[0:1] offset:504
	;; [unrolled: 1-line block ×7, first 2 shown]
	ds_load_2addr_b32 v[77:78], v93 offset1:63
	v_add_nc_u32_e32 v127, 0x200, v93
	s_wait_dscnt 0x0
	v_lshrrev_b32_e32 v104, 16, v77
	s_wait_loadcnt 0x7
	v_lshrrev_b32_e32 v101, 16, v73
	s_delay_alu instid0(VALU_DEP_1) | instskip(NEXT) | instid1(VALU_DEP_3)
	v_mul_f16_e32 v107, v77, v101
	v_mul_f16_e32 v101, v104, v101
	s_delay_alu instid0(VALU_DEP_2) | instskip(NEXT) | instid1(VALU_DEP_2)
	v_fmac_f16_e32 v107, v104, v73
	v_fma_f16 v73, v77, v73, -v101
	v_lshrrev_b32_e32 v77, 16, v78
	s_wait_loadcnt 0x6
	v_lshrrev_b32_e32 v101, 16, v80
	s_delay_alu instid0(VALU_DEP_3) | instskip(NEXT) | instid1(VALU_DEP_2)
	v_pack_b32_f16 v73, v73, v107
	v_mul_f16_e32 v104, v77, v101
	v_mul_f16_e32 v101, v78, v101
	ds_store_b32 v93, v73
	v_add_nc_u32_e32 v73, 0xa00, v93
	v_fma_f16 v104, v78, v80, -v104
	v_fmac_f16_e32 v101, v77, v80
	s_clause 0x4
	global_load_b32 v80, v79, s[0:1] offset:3024
	global_load_b32 v107, v79, s[0:1] offset:3276
	;; [unrolled: 1-line block ×5, first 2 shown]
	ds_load_2addr_b32 v[77:78], v73 offset0:116 offset1:179
	v_pack_b32_f16 v101, v104, v101
	s_wait_dscnt 0x0
	v_lshrrev_b32_e32 v123, 16, v77
	s_wait_loadcnt 0x4
	v_lshrrev_b32_e32 v112, 16, v80
	s_delay_alu instid0(VALU_DEP_1) | instskip(NEXT) | instid1(VALU_DEP_3)
	v_mul_f16_e64 v143, v77, v112
	v_mul_f16_e32 v112, v123, v112
	s_delay_alu instid0(VALU_DEP_2) | instskip(NEXT) | instid1(VALU_DEP_2)
	v_fmac_f16_e64 v143, v123, v80
	v_fma_f16 v80, v77, v80, -v112
	s_wait_loadcnt 0x3
	v_lshrrev_b32_e32 v77, 16, v107
	v_lshrrev_b32_e32 v112, 16, v78
	s_delay_alu instid0(VALU_DEP_2) | instskip(NEXT) | instid1(VALU_DEP_2)
	v_mul_f16_e64 v145, v78, v77
	v_mul_f16_e32 v123, v112, v77
	s_delay_alu instid0(VALU_DEP_2) | instskip(NEXT) | instid1(VALU_DEP_2)
	v_fmac_f16_e64 v145, v112, v107
	v_fma_f16 v146, v78, v107, -v123
	ds_load_2addr_b32 v[77:78], v93 offset0:126 offset1:189
	v_lshrrev_b32_e32 v107, 16, v82
	s_wait_dscnt 0x0
	v_lshrrev_b32_e32 v112, 16, v77
	s_delay_alu instid0(VALU_DEP_2) | instskip(NEXT) | instid1(VALU_DEP_2)
	v_mul_f16_e64 v147, v77, v107
	v_mul_f16_e32 v107, v112, v107
	s_delay_alu instid0(VALU_DEP_2) | instskip(NEXT) | instid1(VALU_DEP_2)
	v_fmac_f16_e64 v147, v112, v82
	v_fma_f16 v82, v77, v82, -v107
	v_lshrrev_b32_e32 v77, 16, v83
	v_lshrrev_b32_e32 v107, 16, v78
	s_delay_alu instid0(VALU_DEP_3) | instskip(NEXT) | instid1(VALU_DEP_3)
	v_pack_b32_f16 v82, v82, v147
	v_mul_f16_e64 v148, v78, v77
	s_delay_alu instid0(VALU_DEP_3) | instskip(SKIP_2) | instid1(VALU_DEP_3)
	v_mul_f16_e32 v112, v107, v77
	s_wait_loadcnt 0x2
	v_lshrrev_b32_e32 v77, 16, v108
	v_fmac_f16_e64 v148, v107, v83
	s_delay_alu instid0(VALU_DEP_3)
	v_fma_f16 v149, v78, v83, -v112
	v_add_nc_u32_e32 v78, 0xc00, v93
	ds_load_2addr_b32 v[226:227], v78 offset0:114 offset1:177
	s_wait_dscnt 0x0
	v_lshrrev_b32_e32 v83, 16, v226
	v_mul_f16_e64 v150, v226, v77
	v_lshrrev_b32_e32 v107, 16, v227
	s_delay_alu instid0(VALU_DEP_3) | instskip(NEXT) | instid1(VALU_DEP_3)
	v_mul_f16_e32 v77, v83, v77
	v_fmac_f16_e64 v150, v83, v108
	s_delay_alu instid0(VALU_DEP_2) | instskip(SKIP_2) | instid1(VALU_DEP_2)
	v_fma_f16 v83, v226, v108, -v77
	s_wait_loadcnt 0x1
	v_lshrrev_b32_e32 v77, 16, v109
	v_pack_b32_f16 v83, v83, v150
	s_delay_alu instid0(VALU_DEP_2) | instskip(SKIP_2) | instid1(VALU_DEP_3)
	v_mul_f16_e32 v108, v107, v77
	v_mul_f16_e64 v151, v227, v77
	v_lshrrev_b32_e32 v77, 16, v84
	v_fma_f16 v108, v227, v109, -v108
	ds_load_2addr_b32 v[226:227], v127 offset0:124 offset1:187
	v_fmac_f16_e64 v151, v107, v109
	s_wait_dscnt 0x0
	v_lshrrev_b32_e32 v107, 16, v226
	v_mul_f16_e64 v109, v226, v77
	s_delay_alu instid0(VALU_DEP_2) | instskip(NEXT) | instid1(VALU_DEP_2)
	v_mul_f16_e32 v77, v107, v77
	v_fmac_f16_e32 v109, v107, v84
	v_lshrrev_b32_e32 v107, 16, v227
	s_delay_alu instid0(VALU_DEP_3) | instskip(SKIP_1) | instid1(VALU_DEP_1)
	v_fma_f16 v84, v226, v84, -v77
	v_lshrrev_b32_e32 v77, 16, v94
	v_mul_f16_e32 v112, v107, v77
	v_mul_f16_e64 v152, v227, v77
	s_delay_alu instid0(VALU_DEP_2) | instskip(NEXT) | instid1(VALU_DEP_2)
	v_fma_f16 v155, v227, v94, -v112
	v_fmac_f16_e64 v152, v107, v94
	s_clause 0x3
	global_load_b32 v77, v79, s[0:1] offset:4032
	global_load_b32 v94, v79, s[0:1] offset:4284
	;; [unrolled: 1-line block ×4, first 2 shown]
	v_add_nc_u32_e32 v107, 0xe00, v93
	s_clause 0x3
	global_load_b32 v156, v79, s[0:1] offset:5040
	global_load_b32 v157, v79, s[0:1] offset:5292
	;; [unrolled: 1-line block ×4, first 2 shown]
	ds_load_2addr_b32 v[226:227], v107 offset0:112 offset1:175
	s_wait_dscnt 0x0
	v_lshrrev_b32_e32 v132, 16, v226
	s_wait_loadcnt 0x7
	v_lshrrev_b32_e32 v112, 16, v77
	s_delay_alu instid0(VALU_DEP_1) | instskip(NEXT) | instid1(VALU_DEP_3)
	v_mul_f16_e64 v85, v226, v112
	v_mul_f16_e64 v112, v132, v112
	s_delay_alu instid0(VALU_DEP_2) | instskip(NEXT) | instid1(VALU_DEP_2)
	v_fmac_f16_e64 v85, v132, v77
	v_fma_f16 v234, v226, v77, -v112
	s_wait_loadcnt 0x6
	v_lshrrev_b32_e32 v77, 16, v94
	v_lshrrev_b32_e32 v112, 16, v227
	s_delay_alu instid0(VALU_DEP_2) | instskip(NEXT) | instid1(VALU_DEP_2)
	v_mul_f16_e64 v231, v227, v77
	v_mul_f16_e64 v132, v112, v77
	v_add_nc_u32_e32 v77, 0x400, v93
	s_delay_alu instid0(VALU_DEP_3) | instskip(NEXT) | instid1(VALU_DEP_3)
	v_fmac_f16_e64 v231, v112, v94
	v_fma_f16 v106, v227, v94, -v132
	ds_load_2addr_b32 v[226:227], v77 offset0:122 offset1:185
	v_lshrrev_b32_e32 v94, 16, v95
	s_wait_dscnt 0x0
	v_lshrrev_b32_e32 v112, 16, v226
	s_delay_alu instid0(VALU_DEP_2) | instskip(NEXT) | instid1(VALU_DEP_2)
	v_mul_f16_e64 v97, v226, v94
	v_mul_f16_e32 v94, v112, v94
	s_delay_alu instid0(VALU_DEP_2) | instskip(SKIP_1) | instid1(VALU_DEP_3)
	v_fmac_f16_e32 v97, v112, v95
	v_lshrrev_b32_e32 v112, 16, v227
	v_fma_f16 v94, v226, v95, -v94
	v_lshrrev_b32_e32 v95, 16, v100
	s_delay_alu instid0(VALU_DEP_1) | instskip(SKIP_1) | instid1(VALU_DEP_2)
	v_mul_f16_e64 v132, v112, v95
	v_mul_f16_e64 v95, v227, v95
	v_fma_f16 v153, v227, v100, -v132
	s_delay_alu instid0(VALU_DEP_2)
	v_fmac_f16_e32 v95, v112, v100
	v_add_nc_u32_e32 v112, 0x1000, v93
	s_wait_loadcnt 0x5
	v_lshrrev_b32_e32 v100, 16, v123
	ds_load_2addr_b32 v[226:227], v112 offset0:110 offset1:173
	s_wait_dscnt 0x0
	v_lshrrev_b32_e32 v132, 16, v226
	v_mul_f16_e64 v159, v226, v100
	s_delay_alu instid0(VALU_DEP_2) | instskip(NEXT) | instid1(VALU_DEP_2)
	v_mul_f16_e64 v100, v132, v100
	v_fmac_f16_e64 v159, v132, v123
	v_lshrrev_b32_e32 v132, 16, v227
	s_delay_alu instid0(VALU_DEP_3) | instskip(SKIP_2) | instid1(VALU_DEP_1)
	v_fma_f16 v100, v226, v123, -v100
	s_wait_loadcnt 0x4
	v_lshrrev_b32_e32 v123, 16, v125
	v_mul_f16_e64 v136, v132, v123
	v_mul_f16_e64 v113, v227, v123
	s_delay_alu instid0(VALU_DEP_2) | instskip(NEXT) | instid1(VALU_DEP_2)
	v_fma_f16 v160, v227, v125, -v136
	v_fmac_f16_e64 v113, v132, v125
	s_clause 0x2
	global_load_b32 v123, v79, s[0:1] offset:2016
	global_load_b32 v125, v79, s[0:1] offset:2268
	;; [unrolled: 1-line block ×3, first 2 shown]
	v_add_nc_u32_e32 v136, 0x600, v93
	ds_store_2addr_b32 v93, v101, v82 offset0:63 offset1:126
	v_pack_b32_f16 v82, v146, v145
	ds_load_2addr_b32 v[226:227], v136 offset0:120 offset1:183
	ds_store_2addr_b32 v78, v82, v83 offset0:51 offset1:114
	v_pack_b32_f16 v82, v149, v148
	v_pack_b32_f16 v83, v84, v109
	ds_store_2addr_b32 v93, v82, v83 offset0:189 offset1:252
	v_pack_b32_f16 v82, v108, v151
	v_pack_b32_f16 v83, v234, v85
	;; [unrolled: 3-line block ×3, first 2 shown]
	s_wait_dscnt 0x3
	v_lshrrev_b32_e32 v161, 16, v226
	ds_store_2addr_b32 v77, v82, v83 offset0:59 offset1:122
	v_pack_b32_f16 v82, v106, v231
	v_pack_b32_f16 v83, v100, v159
	ds_store_2addr_b32 v112, v82, v83 offset0:47 offset1:110
	v_pack_b32_f16 v82, v153, v95
	s_wait_loadcnt 0x2
	v_lshrrev_b32_e32 v132, 16, v123
	s_delay_alu instid0(VALU_DEP_1) | instskip(SKIP_1) | instid1(VALU_DEP_2)
	v_mul_f16_e64 v162, v226, v132
	v_mul_f16_e64 v132, v161, v132
	v_fmac_f16_e64 v162, v161, v123
	s_delay_alu instid0(VALU_DEP_2) | instskip(SKIP_3) | instid1(VALU_DEP_3)
	v_fma_f16 v161, v226, v123, -v132
	s_wait_loadcnt 0x1
	v_lshrrev_b32_e32 v123, 16, v125
	v_lshrrev_b32_e32 v132, 16, v227
	v_pack_b32_f16 v83, v161, v162
	s_delay_alu instid0(VALU_DEP_3) | instskip(NEXT) | instid1(VALU_DEP_3)
	v_mul_f16_e64 v163, v227, v123
	v_mul_f16_e64 v226, v132, v123
	v_lshrrev_b32_e32 v123, 16, v156
	ds_store_2addr_b32 v77, v82, v83 offset0:185 offset1:248
	v_fmac_f16_e64 v163, v132, v125
	v_add_nc_u32_e32 v132, 0x1200, v93
	v_fma_f16 v81, v227, v125, -v226
	v_pack_b32_f16 v82, v160, v113
	ds_load_2addr_b32 v[226:227], v132 offset0:108 offset1:171
	v_pack_b32_f16 v81, v81, v163
	s_wait_dscnt 0x0
	v_lshrrev_b32_e32 v125, 16, v226
	v_mul_f16_e64 v164, v226, v123
	s_delay_alu instid0(VALU_DEP_2) | instskip(NEXT) | instid1(VALU_DEP_2)
	v_mul_f16_e32 v123, v125, v123
	v_fmac_f16_e64 v164, v125, v156
	v_lshrrev_b32_e32 v125, 16, v227
	s_delay_alu instid0(VALU_DEP_3) | instskip(SKIP_1) | instid1(VALU_DEP_2)
	v_fma_f16 v156, v226, v156, -v123
	v_lshrrev_b32_e32 v123, 16, v157
	v_pack_b32_f16 v83, v156, v164
	s_delay_alu instid0(VALU_DEP_2)
	v_mul_f16_e64 v226, v125, v123
	v_mul_f16_e64 v144, v227, v123
	v_add_nc_u32_e32 v123, 0x800, v93
	ds_store_2addr_b32 v112, v82, v83 offset0:173 offset1:236
	v_fma_f16 v91, v227, v157, -v226
	v_fmac_f16_e64 v144, v125, v157
	ds_load_2addr_b32 v[226:227], v123 offset0:118 offset1:181
	s_wait_loadcnt 0x0
	v_lshrrev_b32_e32 v125, 16, v79
	s_wait_dscnt 0x0
	v_lshrrev_b32_e32 v157, 16, v226
	s_delay_alu instid0(VALU_DEP_2) | instskip(NEXT) | instid1(VALU_DEP_2)
	v_mul_f16_e64 v165, v226, v125
	v_mul_f16_e64 v125, v157, v125
	s_delay_alu instid0(VALU_DEP_2) | instskip(SKIP_1) | instid1(VALU_DEP_3)
	v_fmac_f16_e64 v165, v157, v79
	v_lshrrev_b32_e32 v157, 16, v227
	v_fma_f16 v79, v226, v79, -v125
	v_lshrrev_b32_e32 v125, 16, v111
	s_delay_alu instid0(VALU_DEP_2) | instskip(NEXT) | instid1(VALU_DEP_2)
	v_pack_b32_f16 v79, v79, v165
	v_mul_f16_e64 v226, v157, v125
	v_mul_f16_e64 v115, v227, v125
	v_add_nc_u32_e32 v125, 0x1400, v93
	ds_store_2addr_b32 v123, v81, v79 offset0:55 offset1:118
	v_fma_f16 v166, v227, v111, -v226
	v_fmac_f16_e64 v115, v157, v111
	ds_load_2addr_b32 v[226:227], v125 offset0:106 offset1:169
	v_lshrrev_b32_e32 v111, 16, v158
	v_pack_b32_f16 v79, v91, v144
	s_wait_dscnt 0x0
	v_lshrrev_b32_e32 v157, 16, v226
	s_delay_alu instid0(VALU_DEP_3) | instskip(NEXT) | instid1(VALU_DEP_2)
	v_mul_f16_e64 v167, v226, v111
	v_mul_f16_e64 v111, v157, v111
	s_delay_alu instid0(VALU_DEP_2) | instskip(SKIP_1) | instid1(VALU_DEP_3)
	v_fmac_f16_e64 v167, v157, v158
	v_lshrrev_b32_e32 v157, 16, v229
	v_fma_f16 v111, v226, v158, -v111
	v_lshrrev_b32_e32 v158, 16, v227
	s_delay_alu instid0(VALU_DEP_2) | instskip(NEXT) | instid1(VALU_DEP_2)
	v_pack_b32_f16 v81, v111, v167
	v_mul_f16_e64 v226, v158, v157
	v_mul_f16_e64 v157, v227, v157
	ds_store_2addr_b32 v125, v79, v81 offset0:43 offset1:106
	v_fma_f16 v226, v227, v229, -v226
	v_fmac_f16_e64 v157, v158, v229
	v_pack_b32_f16 v79, v80, v143
	v_pack_b32_f16 v80, v166, v115
	v_lshlrev_b32_e32 v81, 3, v128
	ds_store_2addr_b32 v123, v80, v79 offset0:181 offset1:244
	v_pack_b32_f16 v79, v226, v157
	ds_store_b32 v93, v79 offset:5796
	global_wb scope:SCOPE_SE
	s_wait_dscnt 0x0
	s_barrier_signal -1
	s_barrier_wait -1
	global_inv scope:SCOPE_SE
	ds_load_2addr_b32 v[226:227], v93 offset1:63
	ds_load_2addr_b32 v[83:84], v73 offset0:116 offset1:179
	ds_load_2addr_b32 v[79:80], v93 offset0:126 offset1:189
	;; [unrolled: 1-line block ×11, first 2 shown]
	global_wb scope:SCOPE_SE
	s_wait_dscnt 0x0
	s_barrier_signal -1
	s_barrier_wait -1
	global_inv scope:SCOPE_SE
	v_pk_add_f16 v83, v226, v83 neg_lo:[0,1] neg_hi:[0,1]
	s_delay_alu instid0(VALU_DEP_1) | instskip(SKIP_3) | instid1(VALU_DEP_1)
	v_pk_fma_f16 v82, v226, 2.0, v83 op_sel_hi:[1,0,1] neg_lo:[0,0,1] neg_hi:[0,0,1]
	ds_store_b64 v81, v[82:83]
	scratch_load_b32 v81, off, off offset:288 th:TH_LOAD_LU ; 4-byte Folded Reload
	v_pk_add_f16 v83, v227, v84 neg_lo:[0,1] neg_hi:[0,1]
	v_pk_fma_f16 v82, v227, 2.0, v83 op_sel_hi:[1,0,1] neg_lo:[0,0,1] neg_hi:[0,0,1]
	s_wait_loadcnt 0x0
	ds_store_b64 v81, v[82:83]
	v_pk_add_f16 v83, v79, v94 neg_lo:[0,1] neg_hi:[0,1]
	scratch_load_b32 v81, off, off offset:276 th:TH_LOAD_LU ; 4-byte Folded Reload
	v_pk_fma_f16 v82, v79, 2.0, v83 op_sel_hi:[1,0,1] neg_lo:[0,0,1] neg_hi:[0,0,1]
	scratch_load_b32 v79, off, off offset:284 th:TH_LOAD_LU ; 4-byte Folded Reload
	s_wait_loadcnt 0x0
	ds_store_b64 v79, v[82:83]
	scratch_load_b32 v79, off, off offset:280 th:TH_LOAD_LU ; 4-byte Folded Reload
	v_pk_add_f16 v83, v80, v95 neg_lo:[0,1] neg_hi:[0,1]
	s_delay_alu instid0(VALU_DEP_1)
	v_pk_fma_f16 v82, v80, 2.0, v83 op_sel_hi:[1,0,1] neg_lo:[0,0,1] neg_hi:[0,0,1]
	v_pk_add_f16 v80, v100, v145 neg_lo:[0,1] neg_hi:[0,1]
	s_wait_loadcnt 0x0
	ds_store_b64 v79, v[82:83]
	v_pk_fma_f16 v79, v100, 2.0, v80 op_sel_hi:[1,0,1] neg_lo:[0,0,1] neg_hi:[0,0,1]
	ds_store_b64 v81, v[79:80]
	scratch_load_b32 v81, off, off offset:272 th:TH_LOAD_LU ; 4-byte Folded Reload
	v_pk_add_f16 v80, v101, v146 neg_lo:[0,1] neg_hi:[0,1]
	s_delay_alu instid0(VALU_DEP_1) | instskip(SKIP_4) | instid1(VALU_DEP_1)
	v_pk_fma_f16 v79, v101, 2.0, v80 op_sel_hi:[1,0,1] neg_lo:[0,0,1] neg_hi:[0,0,1]
	s_wait_loadcnt 0x0
	ds_store_b64 v81, v[79:80]
	scratch_load_b32 v81, off, off offset:268 th:TH_LOAD_LU ; 4-byte Folded Reload
	v_pk_add_f16 v80, v147, v149 neg_lo:[0,1] neg_hi:[0,1]
	v_pk_fma_f16 v79, v147, 2.0, v80 op_sel_hi:[1,0,1] neg_lo:[0,0,1] neg_hi:[0,0,1]
	s_wait_loadcnt 0x0
	ds_store_b64 v81, v[79:80]
	scratch_load_b32 v81, off, off offset:264 th:TH_LOAD_LU ; 4-byte Folded Reload
	v_pk_add_f16 v80, v148, v150 neg_lo:[0,1] neg_hi:[0,1]
	s_delay_alu instid0(VALU_DEP_1) | instskip(SKIP_3) | instid1(VALU_DEP_1)
	v_pk_fma_f16 v79, v148, 2.0, v80 op_sel_hi:[1,0,1] neg_lo:[0,0,1] neg_hi:[0,0,1]
	s_wait_loadcnt 0x0
	ds_store_b64 v81, v[79:80]
	v_pk_add_f16 v80, v151, v108 neg_lo:[0,1] neg_hi:[0,1]
	v_pk_fma_f16 v79, v151, 2.0, v80 op_sel_hi:[1,0,1] neg_lo:[0,0,1] neg_hi:[0,0,1]
	ds_store_b64 v217, v[79:80]
	v_pk_add_f16 v80, v152, v109 neg_lo:[0,1] neg_hi:[0,1]
	s_delay_alu instid0(VALU_DEP_1) | instskip(SKIP_2) | instid1(VALU_DEP_1)
	v_pk_fma_f16 v79, v152, 2.0, v80 op_sel_hi:[1,0,1] neg_lo:[0,0,1] neg_hi:[0,0,1]
	ds_store_b64 v142, v[79:80]
	v_pk_add_f16 v80, v155, v157 neg_lo:[0,1] neg_hi:[0,1]
	v_pk_fma_f16 v79, v155, 2.0, v80 op_sel_hi:[1,0,1] neg_lo:[0,0,1] neg_hi:[0,0,1]
	ds_store_b64 v139, v[79:80]
	v_pk_add_f16 v80, v156, v158 neg_lo:[0,1] neg_hi:[0,1]
	s_delay_alu instid0(VALU_DEP_1)
	v_pk_fma_f16 v79, v156, 2.0, v80 op_sel_hi:[1,0,1] neg_lo:[0,0,1] neg_hi:[0,0,1]
	ds_store_b64 v138, v[79:80]
	global_wb scope:SCOPE_SE
	s_wait_dscnt 0x0
	s_barrier_signal -1
	s_barrier_wait -1
	global_inv scope:SCOPE_SE
	ds_load_2addr_b32 v[79:80], v73 offset0:116 offset1:179
	s_wait_dscnt 0x0
	v_lshrrev_b32_e32 v81, 16, v79
	v_mul_f16_e64 v82, v208, v79
	s_delay_alu instid0(VALU_DEP_1)
	v_fma_f16 v84, v200, v81, -v82
	ds_load_2addr_b32 v[82:83], v93 offset1:63
	v_mul_f16_e64 v81, v208, v81
	ds_load_2addr_b32 v[94:95], v93 offset0:126 offset1:189
	ds_load_2addr_b32 v[100:101], v78 offset0:114 offset1:177
	;; [unrolled: 1-line block ×10, first 2 shown]
	global_wb scope:SCOPE_SE
	s_wait_dscnt 0x0
	s_barrier_signal -1
	s_barrier_wait -1
	v_fmac_f16_e64 v81, v200, v79
	global_inv scope:SCOPE_SE
	v_lshrrev_b32_e32 v79, 16, v82
	v_sub_f16_e32 v81, v82, v81
	s_delay_alu instid0(VALU_DEP_2) | instskip(NEXT) | instid1(VALU_DEP_1)
	v_sub_f16_e32 v84, v79, v84
	v_fma_f16 v79, v79, 2.0, -v84
	s_delay_alu instid0(VALU_DEP_3) | instskip(SKIP_2) | instid1(VALU_DEP_2)
	v_pack_b32_f16 v84, v81, v84
	v_fma_f16 v81, v82, 2.0, -v81
	v_mul_f16_e32 v82, v102, v80
	v_pack_b32_f16 v79, v81, v79
	scratch_load_b32 v81, off, off offset:216 th:TH_LOAD_LU ; 4-byte Folded Reload
	s_wait_loadcnt 0x0
	ds_store_2addr_b32 v81, v79, v84 offset1:2
	v_lshrrev_b32_e32 v79, 16, v80
	s_delay_alu instid0(VALU_DEP_1) | instskip(SKIP_1) | instid1(VALU_DEP_2)
	v_mul_f16_e32 v81, v102, v79
	v_fma_f16 v79, v247, v79, -v82
	v_fmac_f16_e64 v81, v247, v80
	s_delay_alu instid0(VALU_DEP_1) | instskip(SKIP_1) | instid1(VALU_DEP_2)
	v_sub_f16_e32 v80, v83, v81
	v_lshrrev_b32_e32 v81, 16, v83
	v_fma_f16 v82, v83, 2.0, -v80
	s_delay_alu instid0(VALU_DEP_2) | instskip(NEXT) | instid1(VALU_DEP_1)
	v_sub_f16_e32 v79, v81, v79
	v_fma_f16 v81, v81, 2.0, -v79
	v_pack_b32_f16 v79, v80, v79
	s_delay_alu instid0(VALU_DEP_2)
	v_pack_b32_f16 v80, v82, v81
	scratch_load_b32 v81, off, off offset:220 th:TH_LOAD_LU ; 4-byte Folded Reload
	s_wait_loadcnt 0x0
	ds_store_2addr_b32 v81, v80, v79 offset1:2
	v_lshrrev_b32_e32 v79, 16, v100
	v_mul_f16_e64 v80, v208, v100
	v_lshrrev_b32_e32 v81, 16, v94
	s_delay_alu instid0(VALU_DEP_2) | instskip(SKIP_1) | instid1(VALU_DEP_2)
	v_fma_f16 v80, v200, v79, -v80
	v_mul_f16_e64 v79, v208, v79
	v_sub_f16_e32 v80, v81, v80
	s_delay_alu instid0(VALU_DEP_2) | instskip(NEXT) | instid1(VALU_DEP_2)
	v_fmac_f16_e64 v79, v200, v100
	v_fma_f16 v81, v81, 2.0, -v80
	s_delay_alu instid0(VALU_DEP_2) | instskip(NEXT) | instid1(VALU_DEP_1)
	v_sub_f16_e32 v79, v94, v79
	v_pack_b32_f16 v80, v79, v80
	v_fma_f16 v79, v94, 2.0, -v79
	s_delay_alu instid0(VALU_DEP_1)
	v_pack_b32_f16 v79, v79, v81
	scratch_load_b32 v81, off, off offset:224 th:TH_LOAD_LU ; 4-byte Folded Reload
	s_wait_loadcnt 0x0
	ds_store_2addr_b32 v81, v79, v80 offset1:2
	v_lshrrev_b32_e32 v79, 16, v101
	v_mul_f16_e64 v81, v250, v101
	s_delay_alu instid0(VALU_DEP_2) | instskip(NEXT) | instid1(VALU_DEP_2)
	v_mul_f16_e64 v80, v250, v79
	v_fma_f16 v79, v249, v79, -v81
	v_lshrrev_b32_e32 v81, 16, v95
	s_delay_alu instid0(VALU_DEP_3) | instskip(NEXT) | instid1(VALU_DEP_2)
	v_fmac_f16_e64 v80, v249, v101
	v_sub_f16_e32 v79, v81, v79
	s_delay_alu instid0(VALU_DEP_2) | instskip(NEXT) | instid1(VALU_DEP_2)
	v_sub_f16_e32 v80, v95, v80
	v_fma_f16 v81, v81, 2.0, -v79
	s_delay_alu instid0(VALU_DEP_2) | instskip(SKIP_1) | instid1(VALU_DEP_2)
	v_fma_f16 v82, v95, 2.0, -v80
	v_pack_b32_f16 v79, v80, v79
	v_pack_b32_f16 v80, v82, v81
	scratch_load_b32 v81, off, off offset:228 th:TH_LOAD_LU ; 4-byte Folded Reload
	s_wait_loadcnt 0x0
	ds_store_2addr_b32 v81, v80, v79 offset1:2
	v_lshrrev_b32_e32 v79, 16, v138
	v_mul_f16_e64 v80, v208, v138
	v_lshrrev_b32_e32 v81, 16, v108
	s_delay_alu instid0(VALU_DEP_2) | instskip(SKIP_1) | instid1(VALU_DEP_2)
	v_fma_f16 v80, v200, v79, -v80
	v_mul_f16_e64 v79, v208, v79
	v_sub_f16_e32 v80, v81, v80
	s_delay_alu instid0(VALU_DEP_2) | instskip(NEXT) | instid1(VALU_DEP_2)
	v_fmac_f16_e64 v79, v200, v138
	v_fma_f16 v81, v81, 2.0, -v80
	s_delay_alu instid0(VALU_DEP_2) | instskip(NEXT) | instid1(VALU_DEP_1)
	v_sub_f16_e32 v79, v108, v79
	v_pack_b32_f16 v80, v79, v80
	v_fma_f16 v79, v108, 2.0, -v79
	s_delay_alu instid0(VALU_DEP_1)
	v_pack_b32_f16 v79, v79, v81
	scratch_load_b32 v81, off, off offset:232 th:TH_LOAD_LU ; 4-byte Folded Reload
	s_wait_loadcnt 0x0
	ds_store_2addr_b32 v81, v79, v80 offset1:2
	v_lshrrev_b32_e32 v79, 16, v139
	v_mul_f16_e64 v81, v245, v139
	s_delay_alu instid0(VALU_DEP_2) | instskip(NEXT) | instid1(VALU_DEP_2)
	v_mul_f16_e64 v80, v245, v79
	v_fma_f16 v79, v243, v79, -v81
	v_lshrrev_b32_e32 v81, 16, v109
	s_delay_alu instid0(VALU_DEP_3) | instskip(NEXT) | instid1(VALU_DEP_2)
	v_fmac_f16_e64 v80, v243, v139
	v_sub_f16_e32 v79, v81, v79
	s_delay_alu instid0(VALU_DEP_2) | instskip(NEXT) | instid1(VALU_DEP_2)
	v_sub_f16_e32 v80, v109, v80
	v_fma_f16 v81, v81, 2.0, -v79
	s_delay_alu instid0(VALU_DEP_2) | instskip(SKIP_1) | instid1(VALU_DEP_2)
	v_fma_f16 v82, v109, 2.0, -v80
	v_pack_b32_f16 v79, v80, v79
	v_pack_b32_f16 v80, v82, v81
	scratch_load_b32 v81, off, off offset:236 th:TH_LOAD_LU ; 4-byte Folded Reload
	s_wait_loadcnt 0x0
	ds_store_2addr_b32 v81, v80, v79 offset1:2
	v_lshrrev_b32_e32 v79, 16, v144
	v_mul_f16_e64 v80, v208, v144
	v_lshrrev_b32_e32 v81, 16, v142
	s_delay_alu instid0(VALU_DEP_2) | instskip(SKIP_1) | instid1(VALU_DEP_2)
	v_fma_f16 v80, v200, v79, -v80
	v_mul_f16_e64 v79, v208, v79
	v_sub_f16_e32 v80, v81, v80
	s_delay_alu instid0(VALU_DEP_2) | instskip(NEXT) | instid1(VALU_DEP_2)
	v_fmac_f16_e64 v79, v200, v144
	v_fma_f16 v81, v81, 2.0, -v80
	s_delay_alu instid0(VALU_DEP_2) | instskip(NEXT) | instid1(VALU_DEP_1)
	v_sub_f16_e64 v79, v142, v79
	v_pack_b32_f16 v80, v79, v80
	v_fma_f16 v79, v142, 2.0, -v79
	s_delay_alu instid0(VALU_DEP_1)
	v_pack_b32_f16 v79, v79, v81
	scratch_load_b32 v81, off, off offset:240 th:TH_LOAD_LU ; 4-byte Folded Reload
	s_wait_loadcnt 0x0
	ds_store_2addr_b32 v81, v79, v80 offset1:2
	v_lshrrev_b32_e32 v79, 16, v145
	v_mul_f16_e64 v81, v225, v145
	s_delay_alu instid0(VALU_DEP_2) | instskip(NEXT) | instid1(VALU_DEP_2)
	v_mul_f16_e64 v80, v225, v79
	v_fma_f16 v79, v224, v79, -v81
	v_lshrrev_b32_e32 v81, 16, v143
	s_delay_alu instid0(VALU_DEP_3) | instskip(NEXT) | instid1(VALU_DEP_2)
	v_fmac_f16_e64 v80, v224, v145
	v_sub_f16_e32 v79, v81, v79
	s_delay_alu instid0(VALU_DEP_2) | instskip(NEXT) | instid1(VALU_DEP_2)
	v_sub_f16_e64 v80, v143, v80
	v_fma_f16 v81, v81, 2.0, -v79
	s_delay_alu instid0(VALU_DEP_2) | instskip(SKIP_1) | instid1(VALU_DEP_2)
	v_fma_f16 v82, v143, 2.0, -v80
	v_pack_b32_f16 v79, v80, v79
	v_pack_b32_f16 v80, v82, v81
	scratch_load_b32 v81, off, off offset:244 th:TH_LOAD_LU ; 4-byte Folded Reload
	s_wait_loadcnt 0x0
	ds_store_2addr_b32 v81, v80, v79 offset1:2
	v_lshrrev_b32_e32 v79, 16, v148
	v_mul_f16_e64 v80, v208, v148
	v_lshrrev_b32_e32 v81, 16, v146
	s_delay_alu instid0(VALU_DEP_2) | instskip(SKIP_1) | instid1(VALU_DEP_2)
	v_fma_f16 v80, v200, v79, -v80
	v_mul_f16_e64 v79, v208, v79
	v_sub_f16_e32 v80, v81, v80
	s_delay_alu instid0(VALU_DEP_2) | instskip(NEXT) | instid1(VALU_DEP_2)
	v_fmac_f16_e64 v79, v200, v148
	v_fma_f16 v81, v81, 2.0, -v80
	s_delay_alu instid0(VALU_DEP_2) | instskip(NEXT) | instid1(VALU_DEP_1)
	v_sub_f16_e64 v79, v146, v79
	v_pack_b32_f16 v80, v79, v80
	v_fma_f16 v79, v146, 2.0, -v79
	s_delay_alu instid0(VALU_DEP_1)
	v_pack_b32_f16 v79, v79, v81
	scratch_load_b32 v81, off, off offset:248 th:TH_LOAD_LU ; 4-byte Folded Reload
	s_wait_loadcnt 0x0
	ds_store_2addr_b32 v81, v79, v80 offset1:2
	v_lshrrev_b32_e32 v79, 16, v149
	v_mul_f16_e64 v81, v219, v149
	s_delay_alu instid0(VALU_DEP_2) | instskip(NEXT) | instid1(VALU_DEP_2)
	v_mul_f16_e64 v80, v219, v79
	v_fma_f16 v79, v218, v79, -v81
	v_lshrrev_b32_e32 v81, 16, v147
	s_delay_alu instid0(VALU_DEP_3) | instskip(NEXT) | instid1(VALU_DEP_2)
	v_fmac_f16_e64 v80, v218, v149
	v_sub_f16_e32 v79, v81, v79
	s_delay_alu instid0(VALU_DEP_2) | instskip(NEXT) | instid1(VALU_DEP_2)
	v_sub_f16_e64 v80, v147, v80
	v_fma_f16 v81, v81, 2.0, -v79
	s_delay_alu instid0(VALU_DEP_2) | instskip(SKIP_1) | instid1(VALU_DEP_2)
	v_fma_f16 v82, v147, 2.0, -v80
	v_pack_b32_f16 v79, v80, v79
	v_pack_b32_f16 v80, v82, v81
	scratch_load_b32 v81, off, off offset:252 th:TH_LOAD_LU ; 4-byte Folded Reload
	s_wait_loadcnt 0x0
	ds_store_2addr_b32 v81, v80, v79 offset1:2
	v_lshrrev_b32_e32 v79, 16, v155
	v_mul_f16_e64 v80, v208, v155
	s_delay_alu instid0(VALU_DEP_2) | instskip(NEXT) | instid1(VALU_DEP_2)
	v_mul_f16_e64 v81, v208, v79
	v_fma_f16 v79, v200, v79, -v80
	v_lshrrev_b32_e32 v80, 16, v150
	s_delay_alu instid0(VALU_DEP_3) | instskip(NEXT) | instid1(VALU_DEP_2)
	v_fmac_f16_e64 v81, v200, v155
	v_sub_f16_e32 v79, v80, v79
	s_delay_alu instid0(VALU_DEP_2) | instskip(NEXT) | instid1(VALU_DEP_2)
	v_sub_f16_e64 v81, v150, v81
	v_fma_f16 v80, v80, 2.0, -v79
	s_delay_alu instid0(VALU_DEP_2) | instskip(SKIP_1) | instid1(VALU_DEP_1)
	v_pack_b32_f16 v79, v81, v79
	v_fma_f16 v81, v150, 2.0, -v81
	v_pack_b32_f16 v80, v81, v80
	scratch_load_b32 v81, off, off offset:256 th:TH_LOAD_LU ; 4-byte Folded Reload
	s_wait_loadcnt 0x0
	ds_store_2addr_b32 v81, v80, v79 offset1:2
	v_lshrrev_b32_e32 v79, 16, v156
	v_mul_f16_e64 v81, v205, v156
	s_delay_alu instid0(VALU_DEP_2) | instskip(NEXT) | instid1(VALU_DEP_2)
	v_mul_f16_e64 v80, v205, v79
	v_fma_f16 v79, v204, v79, -v81
	v_lshrrev_b32_e32 v81, 16, v151
	s_delay_alu instid0(VALU_DEP_3) | instskip(NEXT) | instid1(VALU_DEP_2)
	v_fmac_f16_e64 v80, v204, v156
	v_sub_f16_e32 v79, v81, v79
	s_delay_alu instid0(VALU_DEP_2) | instskip(NEXT) | instid1(VALU_DEP_2)
	v_sub_f16_e64 v80, v151, v80
	v_fma_f16 v81, v81, 2.0, -v79
	s_delay_alu instid0(VALU_DEP_2) | instskip(SKIP_1) | instid1(VALU_DEP_2)
	v_fma_f16 v82, v151, 2.0, -v80
	v_pack_b32_f16 v79, v80, v79
	v_pack_b32_f16 v80, v82, v81
	scratch_load_b32 v81, off, off offset:260 th:TH_LOAD_LU ; 4-byte Folded Reload
	s_wait_loadcnt 0x0
	ds_store_2addr_b32 v81, v80, v79 offset1:2
	global_wb scope:SCOPE_SE
	s_wait_dscnt 0x0
	s_barrier_signal -1
	s_barrier_wait -1
	global_inv scope:SCOPE_SE
	ds_load_2addr_b32 v[79:80], v73 offset0:116 offset1:179
	s_wait_dscnt 0x0
	v_lshrrev_b32_e32 v81, 16, v79
	v_mul_f16_e64 v82, v189, v79
	s_delay_alu instid0(VALU_DEP_1)
	v_fma_f16 v84, v178, v81, -v82
	ds_load_2addr_b32 v[82:83], v93 offset1:63
	v_mul_f16_e64 v81, v189, v81
	ds_load_2addr_b32 v[94:95], v93 offset0:126 offset1:189
	ds_load_2addr_b32 v[100:101], v78 offset0:114 offset1:177
	;; [unrolled: 1-line block ×10, first 2 shown]
	global_wb scope:SCOPE_SE
	s_wait_dscnt 0x0
	s_barrier_signal -1
	s_barrier_wait -1
	v_fmac_f16_e64 v81, v178, v79
	global_inv scope:SCOPE_SE
	v_lshrrev_b32_e32 v79, 16, v82
	v_sub_f16_e32 v81, v82, v81
	s_delay_alu instid0(VALU_DEP_2) | instskip(NEXT) | instid1(VALU_DEP_1)
	v_sub_f16_e32 v84, v79, v84
	v_fma_f16 v79, v79, 2.0, -v84
	s_delay_alu instid0(VALU_DEP_3) | instskip(SKIP_2) | instid1(VALU_DEP_2)
	v_pack_b32_f16 v84, v81, v84
	v_fma_f16 v81, v82, 2.0, -v81
	v_mul_f16_e64 v82, v236, v80
	v_pack_b32_f16 v79, v81, v79
	scratch_load_b32 v81, off, off offset:168 th:TH_LOAD_LU ; 4-byte Folded Reload
	s_wait_loadcnt 0x0
	ds_store_2addr_b32 v81, v79, v84 offset1:4
	v_lshrrev_b32_e32 v79, 16, v80
	s_delay_alu instid0(VALU_DEP_1) | instskip(SKIP_1) | instid1(VALU_DEP_2)
	v_mul_f16_e64 v81, v236, v79
	v_fma_f16 v79, v209, v79, -v82
	v_fmac_f16_e64 v81, v209, v80
	s_delay_alu instid0(VALU_DEP_1) | instskip(SKIP_1) | instid1(VALU_DEP_2)
	v_sub_f16_e32 v80, v83, v81
	v_lshrrev_b32_e32 v81, 16, v83
	v_fma_f16 v82, v83, 2.0, -v80
	s_delay_alu instid0(VALU_DEP_2) | instskip(NEXT) | instid1(VALU_DEP_1)
	v_sub_f16_e32 v79, v81, v79
	v_fma_f16 v81, v81, 2.0, -v79
	v_pack_b32_f16 v79, v80, v79
	s_delay_alu instid0(VALU_DEP_2)
	v_pack_b32_f16 v80, v82, v81
	scratch_load_b32 v81, off, off offset:208 th:TH_LOAD_LU ; 4-byte Folded Reload
	s_wait_loadcnt 0x0
	ds_store_2addr_b32 v81, v80, v79 offset1:4
	v_lshrrev_b32_e32 v79, 16, v100
	v_mul_f16_e64 v80, v241, v100
	s_delay_alu instid0(VALU_DEP_2) | instskip(NEXT) | instid1(VALU_DEP_2)
	v_mul_f16_e64 v81, v241, v79
	v_fma_f16 v79, v212, v79, -v80
	v_lshrrev_b32_e32 v80, 16, v94
	s_delay_alu instid0(VALU_DEP_3) | instskip(NEXT) | instid1(VALU_DEP_2)
	v_fmac_f16_e64 v81, v212, v100
	v_sub_f16_e32 v79, v80, v79
	s_delay_alu instid0(VALU_DEP_2) | instskip(NEXT) | instid1(VALU_DEP_2)
	v_sub_f16_e32 v81, v94, v81
	v_fma_f16 v80, v80, 2.0, -v79
	s_delay_alu instid0(VALU_DEP_2)
	v_fma_f16 v82, v94, 2.0, -v81
	v_pack_b32_f16 v79, v81, v79
	scratch_load_b32 v81, off, off offset:176 th:TH_LOAD_LU ; 4-byte Folded Reload
	v_pack_b32_f16 v80, v82, v80
	s_wait_loadcnt 0x0
	ds_store_2addr_b32 v81, v80, v79 offset1:4
	v_lshrrev_b32_e32 v79, 16, v101
	v_mul_f16_e64 v81, v228, v101
	s_delay_alu instid0(VALU_DEP_2) | instskip(NEXT) | instid1(VALU_DEP_2)
	v_mul_f16_e64 v80, v228, v79
	v_fma_f16 v79, v203, v79, -v81
	v_lshrrev_b32_e32 v81, 16, v95
	s_delay_alu instid0(VALU_DEP_3) | instskip(NEXT) | instid1(VALU_DEP_2)
	v_fmac_f16_e64 v80, v203, v101
	v_sub_f16_e32 v79, v81, v79
	s_delay_alu instid0(VALU_DEP_2) | instskip(NEXT) | instid1(VALU_DEP_2)
	v_sub_f16_e32 v80, v95, v80
	v_fma_f16 v81, v81, 2.0, -v79
	s_delay_alu instid0(VALU_DEP_2)
	v_fma_f16 v82, v95, 2.0, -v80
	v_pack_b32_f16 v79, v80, v79
	scratch_load_b32 v80, off, off offset:184 th:TH_LOAD_LU ; 4-byte Folded Reload
	v_pack_b32_f16 v81, v82, v81
	s_wait_loadcnt 0x0
	ds_store_2addr_b32 v80, v81, v79 offset1:4
	v_lshrrev_b32_e32 v79, 16, v138
	v_mul_f16_e64 v80, v189, v138
	v_lshrrev_b32_e32 v81, 16, v108
	s_delay_alu instid0(VALU_DEP_2) | instskip(SKIP_1) | instid1(VALU_DEP_2)
	v_fma_f16 v80, v178, v79, -v80
	v_mul_f16_e64 v79, v189, v79
	v_sub_f16_e32 v80, v81, v80
	s_delay_alu instid0(VALU_DEP_2) | instskip(NEXT) | instid1(VALU_DEP_2)
	v_fmac_f16_e64 v79, v178, v138
	v_fma_f16 v81, v81, 2.0, -v80
	s_delay_alu instid0(VALU_DEP_2) | instskip(NEXT) | instid1(VALU_DEP_1)
	v_sub_f16_e32 v79, v108, v79
	v_fma_f16 v82, v108, 2.0, -v79
	v_pack_b32_f16 v79, v79, v80
	scratch_load_b32 v80, off, off offset:192 th:TH_LOAD_LU ; 4-byte Folded Reload
	v_pack_b32_f16 v81, v82, v81
	s_wait_loadcnt 0x0
	ds_store_2addr_b32 v80, v81, v79 offset1:4
	v_lshrrev_b32_e32 v79, 16, v139
	v_mul_f16_e64 v81, v207, v139
	s_delay_alu instid0(VALU_DEP_2) | instskip(NEXT) | instid1(VALU_DEP_2)
	v_mul_f16_e64 v80, v207, v79
	v_fma_f16 v79, v206, v79, -v81
	v_lshrrev_b32_e32 v81, 16, v109
	s_delay_alu instid0(VALU_DEP_3) | instskip(NEXT) | instid1(VALU_DEP_2)
	v_fmac_f16_e64 v80, v206, v139
	v_sub_f16_e32 v79, v81, v79
	s_delay_alu instid0(VALU_DEP_2) | instskip(NEXT) | instid1(VALU_DEP_2)
	v_sub_f16_e32 v80, v109, v80
	v_fma_f16 v81, v81, 2.0, -v79
	s_delay_alu instid0(VALU_DEP_2)
	v_fma_f16 v82, v109, 2.0, -v80
	v_pack_b32_f16 v79, v80, v79
	scratch_load_b32 v80, off, off offset:200 th:TH_LOAD_LU ; 4-byte Folded Reload
	v_pack_b32_f16 v81, v82, v81
	s_wait_loadcnt 0x0
	ds_store_2addr_b32 v80, v81, v79 offset1:4
	v_lshrrev_b32_e32 v79, 16, v144
	v_mul_f16_e64 v80, v202, v144
	s_delay_alu instid0(VALU_DEP_2) | instskip(NEXT) | instid1(VALU_DEP_2)
	v_mul_f16_e64 v81, v202, v79
	v_fma_f16 v79, v201, v79, -v80
	v_lshrrev_b32_e32 v80, 16, v142
	s_delay_alu instid0(VALU_DEP_3) | instskip(NEXT) | instid1(VALU_DEP_2)
	v_fmac_f16_e64 v81, v201, v144
	v_sub_f16_e32 v79, v80, v79
	s_delay_alu instid0(VALU_DEP_2) | instskip(NEXT) | instid1(VALU_DEP_2)
	v_sub_f16_e64 v81, v142, v81
	v_fma_f16 v80, v80, 2.0, -v79
	s_delay_alu instid0(VALU_DEP_2)
	v_fma_f16 v82, v142, 2.0, -v81
	v_pack_b32_f16 v79, v81, v79
	scratch_load_b32 v81, off, off offset:212 th:TH_LOAD_LU ; 4-byte Folded Reload
	v_pack_b32_f16 v80, v82, v80
	s_wait_loadcnt 0x0
	ds_store_2addr_b32 v81, v80, v79 offset1:4
	v_lshrrev_b32_e32 v79, 16, v145
	v_mul_f16_e64 v81, v199, v145
	s_delay_alu instid0(VALU_DEP_2) | instskip(NEXT) | instid1(VALU_DEP_2)
	v_mul_f16_e64 v80, v199, v79
	v_fma_f16 v79, v198, v79, -v81
	v_lshrrev_b32_e32 v81, 16, v143
	s_delay_alu instid0(VALU_DEP_3) | instskip(NEXT) | instid1(VALU_DEP_2)
	v_fmac_f16_e64 v80, v198, v145
	v_sub_f16_e32 v79, v81, v79
	s_delay_alu instid0(VALU_DEP_2) | instskip(NEXT) | instid1(VALU_DEP_2)
	v_sub_f16_e64 v80, v143, v80
	;; [unrolled: 19-line block ×6, first 2 shown]
	v_fma_f16 v81, v81, 2.0, -v79
	s_delay_alu instid0(VALU_DEP_2)
	v_fma_f16 v82, v151, 2.0, -v80
	v_pack_b32_f16 v79, v80, v79
	scratch_load_b32 v80, off, off offset:204 th:TH_LOAD_LU ; 4-byte Folded Reload
	v_pack_b32_f16 v81, v82, v81
	s_wait_loadcnt 0x0
	ds_store_2addr_b32 v80, v81, v79 offset1:4
	global_wb scope:SCOPE_SE
	s_wait_dscnt 0x0
	s_barrier_signal -1
	s_barrier_wait -1
	global_inv scope:SCOPE_SE
	ds_load_2addr_b32 v[79:80], v136 offset0:120 offset1:183
	s_wait_dscnt 0x0
	v_lshrrev_b32_e32 v81, 16, v79
	v_mul_f16_e64 v82, v248, v79
	s_delay_alu instid0(VALU_DEP_2) | instskip(NEXT) | instid1(VALU_DEP_2)
	v_mul_f16_e64 v84, v248, v81
	v_fma_f16 v81, v55, v81, -v82
	ds_load_2addr_b32 v[82:83], v107 offset0:112 offset1:175
	v_fmac_f16_e32 v84, v55, v79
	v_lshrrev_b32_e32 v55, 16, v80
	s_delay_alu instid0(VALU_DEP_1) | instskip(NEXT) | instid1(VALU_DEP_1)
	v_mul_f16_e64 v79, v242, v55
	v_fmac_f16_e32 v79, v53, v80
	s_wait_dscnt 0x0
	v_lshrrev_b32_e32 v85, 16, v82
	v_mul_f16_e64 v91, v246, v82
	s_delay_alu instid0(VALU_DEP_2) | instskip(NEXT) | instid1(VALU_DEP_2)
	v_mul_f16_e64 v94, v246, v85
	v_fma_f16 v85, v56, v85, -v91
	v_mul_f16_e64 v91, v244, v83
	s_delay_alu instid0(VALU_DEP_3) | instskip(SKIP_2) | instid1(VALU_DEP_1)
	v_fmac_f16_e32 v94, v56, v82
	v_mul_f16_e64 v56, v242, v80
	v_lshrrev_b32_e32 v80, 16, v83
	v_mul_f16_e64 v82, v244, v80
	v_fma_f16 v80, v54, v80, -v91
	s_delay_alu instid0(VALU_DEP_2)
	v_fmac_f16_e32 v82, v54, v83
	v_fma_f16 v83, v53, v55, -v56
	ds_load_2addr_b32 v[53:54], v123 offset0:118 offset1:181
	s_wait_dscnt 0x0
	v_lshrrev_b32_e32 v55, 16, v53
	v_mul_f16_e64 v56, v255, v53
	s_delay_alu instid0(VALU_DEP_2) | instskip(NEXT) | instid1(VALU_DEP_2)
	v_mul_f16_e64 v91, v255, v55
	v_fma_f16 v95, v63, v55, -v56
	ds_load_2addr_b32 v[55:56], v112 offset0:110 offset1:173
	v_fmac_f16_e32 v91, v63, v53
	v_lshrrev_b32_e32 v53, 16, v54
	s_delay_alu instid0(VALU_DEP_1) | instskip(NEXT) | instid1(VALU_DEP_1)
	v_mul_f16_e64 v63, v251, v53
	v_fmac_f16_e32 v63, v59, v54
	s_wait_dscnt 0x0
	v_lshrrev_b32_e32 v97, 16, v55
	v_mul_f16_e64 v100, v254, v55
	s_delay_alu instid0(VALU_DEP_2) | instskip(NEXT) | instid1(VALU_DEP_2)
	v_mul_f16_e64 v101, v254, v97
	v_fma_f16 v97, v64, v97, -v100
	v_mul_f16_e64 v100, v252, v56
	s_delay_alu instid0(VALU_DEP_3) | instskip(SKIP_2) | instid1(VALU_DEP_2)
	v_fmac_f16_e32 v101, v64, v55
	v_mul_f16_e64 v55, v251, v54
	v_lshrrev_b32_e32 v54, 16, v56
	v_fma_f16 v102, v59, v53, -v55
	s_delay_alu instid0(VALU_DEP_2)
	v_mul_f16_e64 v64, v252, v54
	v_fma_f16 v100, v60, v54, -v100
	ds_load_2addr_b32 v[53:54], v73 offset0:116 offset1:179
	v_fmac_f16_e32 v64, v60, v56
	s_wait_dscnt 0x0
	v_lshrrev_b32_e32 v55, 16, v53
	v_mul_f16_e32 v56, v118, v53
	s_delay_alu instid0(VALU_DEP_2) | instskip(NEXT) | instid1(VALU_DEP_2)
	v_mul_f16_e32 v104, v118, v55
	v_fma_f16 v106, v67, v55, -v56
	ds_load_2addr_b32 v[55:56], v132 offset0:108 offset1:171
	v_fmac_f16_e32 v104, v67, v53
	v_lshrrev_b32_e32 v53, 16, v54
	s_delay_alu instid0(VALU_DEP_1) | instskip(NEXT) | instid1(VALU_DEP_1)
	v_mul_f16_e32 v67, v98, v53
	v_fmac_f16_e32 v67, v65, v54
	s_wait_dscnt 0x0
	v_lshrrev_b32_e32 v59, 16, v55
	v_mul_f16_e32 v60, v114, v55
	s_delay_alu instid0(VALU_DEP_2) | instskip(NEXT) | instid1(VALU_DEP_2)
	v_mul_f16_e32 v108, v114, v59
	v_fma_f16 v109, v68, v59, -v60
	v_mul_f16_e32 v59, v99, v56
	s_delay_alu instid0(VALU_DEP_3) | instskip(SKIP_2) | instid1(VALU_DEP_2)
	v_fmac_f16_e32 v108, v68, v55
	v_mul_f16_e32 v55, v98, v54
	v_lshrrev_b32_e32 v54, 16, v56
	v_fma_f16 v65, v65, v53, -v55
	s_delay_alu instid0(VALU_DEP_2) | instskip(NEXT) | instid1(VALU_DEP_1)
	v_mul_f16_e32 v68, v99, v54
	v_fmac_f16_e32 v68, v66, v56
	v_fma_f16 v66, v66, v54, -v59
	ds_load_2addr_b32 v[53:54], v78 offset0:114 offset1:177
	s_wait_dscnt 0x0
	v_lshrrev_b32_e32 v55, 16, v53
	v_mul_f16_e64 v56, v141, v53
	s_delay_alu instid0(VALU_DEP_2) | instskip(NEXT) | instid1(VALU_DEP_2)
	v_mul_f16_e64 v98, v141, v55
	v_fma_f16 v99, v61, v55, -v56
	ds_load_2addr_b32 v[55:56], v125 offset0:106 offset1:169
	v_fmac_f16_e32 v98, v61, v53
	v_lshrrev_b32_e32 v53, 16, v54
	s_delay_alu instid0(VALU_DEP_1) | instskip(NEXT) | instid1(VALU_DEP_1)
	v_mul_f16_e64 v61, v130, v53
	v_fmac_f16_e32 v61, v57, v54
	s_wait_dscnt 0x0
	v_lshrrev_b32_e32 v59, 16, v55
	v_mul_f16_e64 v60, v140, v55
	s_delay_alu instid0(VALU_DEP_2) | instskip(NEXT) | instid1(VALU_DEP_2)
	v_mul_f16_e64 v111, v140, v59
	v_fma_f16 v113, v62, v59, -v60
	v_mul_f16_e64 v59, v133, v56
	s_delay_alu instid0(VALU_DEP_3) | instskip(SKIP_2) | instid1(VALU_DEP_2)
	v_fmac_f16_e32 v111, v62, v55
	v_mul_f16_e64 v55, v130, v54
	v_lshrrev_b32_e32 v54, 16, v56
	v_fma_f16 v114, v57, v53, -v55
	s_delay_alu instid0(VALU_DEP_2)
	v_mul_f16_e64 v62, v133, v54
	v_fma_f16 v115, v58, v54, -v59
	ds_load_2addr_b32 v[53:54], v93 offset1:63
	v_add_f16_e32 v55, v81, v85
	v_add_f16_e32 v57, v84, v94
	v_fmac_f16_e32 v62, v58, v56
	s_wait_dscnt 0x0
	v_lshrrev_b32_e32 v118, 16, v53
	v_add_f16_e64 v130, v54, v79
	s_delay_alu instid0(VALU_DEP_2) | instskip(SKIP_2) | instid1(VALU_DEP_3)
	v_add_f16_e32 v56, v118, v81
	v_fmac_f16_e32 v118, -0.5, v55
	v_sub_f16_e32 v81, v81, v85
	v_add_f16_e32 v55, v56, v85
	v_add_f16_e32 v56, v53, v84
	v_sub_f16_e32 v84, v84, v94
	v_fma_f16 v53, -0.5, v57, v53
	s_delay_alu instid0(VALU_DEP_3) | instskip(NEXT) | instid1(VALU_DEP_1)
	v_add_f16_e32 v56, v56, v94
	v_pack_b32_f16 v85, v56, v55
	s_delay_alu instid0(VALU_DEP_3) | instskip(SKIP_4) | instid1(VALU_DEP_4)
	v_fmamk_f16 v55, v81, 0xbaee, v53
	v_fmamk_f16 v56, v84, 0x3aee, v118
	v_fmac_f16_e32 v53, 0x3aee, v81
	v_fmac_f16_e32 v118, 0xbaee, v84
	v_add_f16_e32 v81, v91, v101
	v_pack_b32_f16 v94, v55, v56
	ds_load_2addr_b32 v[55:56], v93 offset0:126 offset1:189
	ds_load_2addr_b32 v[57:58], v127 offset0:124 offset1:187
	;; [unrolled: 1-line block ×3, first 2 shown]
	global_wb scope:SCOPE_SE
	s_wait_dscnt 0x0
	s_barrier_signal -1
	s_barrier_wait -1
	global_inv scope:SCOPE_SE
	scratch_load_b32 v138, off, off offset:156 th:TH_LOAD_LU ; 4-byte Folded Reload
	v_pack_b32_f16 v53, v53, v118
	s_wait_loadcnt 0x0
	ds_store_2addr_b32 v138, v85, v94 offset1:8
	v_add_f16_e32 v85, v79, v82
	v_lshrrev_b32_e32 v94, 16, v54
	v_sub_f16_e32 v79, v79, v82
	ds_store_b32 v138, v53 offset:64
	v_add_f16_e64 v53, v130, v82
	v_fmac_f16_e32 v54, -0.5, v85
	v_add_f16_e32 v85, v83, v80
	v_add_f16_e64 v133, v94, v83
	v_sub_f16_e32 v83, v83, v80
	v_sub_f16_e32 v82, v91, v101
	s_delay_alu instid0(VALU_DEP_4) | instskip(NEXT) | instid1(VALU_DEP_3)
	v_fmac_f16_e32 v94, -0.5, v85
	v_fmamk_f16 v85, v83, 0xbaee, v54
	v_fmac_f16_e32 v54, 0x3aee, v83
	s_delay_alu instid0(VALU_DEP_3)
	v_fmamk_f16 v83, v79, 0x3aee, v94
	v_fmac_f16_e32 v94, 0xbaee, v79
	v_add_f16_e64 v79, v133, v80
	scratch_load_b32 v80, off, off offset:160 th:TH_LOAD_LU ; 4-byte Folded Reload
	v_pack_b32_f16 v54, v54, v94
	v_pack_b32_f16 v53, v53, v79
	;; [unrolled: 1-line block ×3, first 2 shown]
	s_wait_loadcnt 0x0
	ds_store_2addr_b32 v80, v53, v79 offset1:8
	ds_store_b32 v80, v54 offset:64
	v_lshrrev_b32_e32 v53, 16, v55
	v_add_f16_e32 v54, v95, v97
	v_add_f16_e32 v80, v55, v91
	v_fma_f16 v55, -0.5, v81, v55
	s_delay_alu instid0(VALU_DEP_4) | instskip(NEXT) | instid1(VALU_DEP_4)
	v_add_f16_e32 v79, v53, v95
	v_fmac_f16_e32 v53, -0.5, v54
	v_sub_f16_e32 v54, v95, v97
	v_add_f16_e32 v80, v80, v101
	s_delay_alu instid0(VALU_DEP_4) | instskip(NEXT) | instid1(VALU_DEP_4)
	v_add_f16_e32 v79, v79, v97
	v_fmamk_f16 v81, v82, 0x3aee, v53
	v_fmac_f16_e32 v53, 0xbaee, v82
	s_delay_alu instid0(VALU_DEP_3) | instskip(SKIP_3) | instid1(VALU_DEP_3)
	v_pack_b32_f16 v79, v80, v79
	v_fmamk_f16 v80, v54, 0xbaee, v55
	v_fmac_f16_e32 v55, 0x3aee, v54
	v_lshrrev_b32_e32 v54, 16, v56
	v_pack_b32_f16 v80, v80, v81
	s_delay_alu instid0(VALU_DEP_3)
	v_pack_b32_f16 v53, v55, v53
	v_add_f16_e32 v55, v56, v63
	ds_store_2addr_b32 v168, v79, v80 offset1:8
	ds_store_b32 v168, v53 offset:64
	v_add_f16_e32 v53, v63, v64
	v_add_f16_e32 v79, v54, v102
	s_delay_alu instid0(VALU_DEP_2) | instskip(SKIP_1) | instid1(VALU_DEP_1)
	v_fmac_f16_e32 v56, -0.5, v53
	v_add_f16_e32 v53, v102, v100
	v_fmac_f16_e32 v54, -0.5, v53
	v_sub_f16_e32 v53, v102, v100
	s_delay_alu instid0(VALU_DEP_1) | instskip(SKIP_2) | instid1(VALU_DEP_1)
	v_fmamk_f16 v80, v53, 0xbaee, v56
	v_fmac_f16_e32 v56, 0x3aee, v53
	v_sub_f16_e32 v53, v63, v64
	v_fmamk_f16 v63, v53, 0x3aee, v54
	v_fmac_f16_e32 v54, 0xbaee, v53
	s_delay_alu instid0(VALU_DEP_1) | instskip(SKIP_4) | instid1(VALU_DEP_2)
	v_pack_b32_f16 v53, v56, v54
	scratch_load_b32 v56, off, off offset:164 th:TH_LOAD_LU ; 4-byte Folded Reload
	v_add_f16_e32 v54, v55, v64
	v_add_f16_e32 v55, v79, v100
	v_sub_f16_e32 v64, v104, v108
	v_pack_b32_f16 v54, v54, v55
	v_pack_b32_f16 v55, v80, v63
	v_add_f16_e32 v63, v104, v108
	s_wait_loadcnt 0x0
	ds_store_2addr_b32 v56, v54, v55 offset1:8
	ds_store_b32 v56, v53 offset:64
	v_lshrrev_b32_e32 v53, 16, v57
	v_add_f16_e32 v56, v57, v104
	v_add_f16_e32 v54, v106, v109
	s_delay_alu instid0(VALU_DEP_3) | instskip(NEXT) | instid1(VALU_DEP_3)
	v_add_f16_e32 v55, v53, v106
	v_add_f16_e32 v56, v56, v108
	s_delay_alu instid0(VALU_DEP_3) | instskip(SKIP_1) | instid1(VALU_DEP_4)
	v_fmac_f16_e32 v53, -0.5, v54
	v_sub_f16_e32 v54, v106, v109
	v_add_f16_e32 v55, v55, v109
	s_delay_alu instid0(VALU_DEP_1) | instskip(SKIP_4) | instid1(VALU_DEP_4)
	v_pack_b32_f16 v55, v56, v55
	v_fma_f16 v56, -0.5, v63, v57
	v_fmamk_f16 v63, v64, 0x3aee, v53
	v_fmac_f16_e32 v53, 0xbaee, v64
	v_sub_f16_e32 v64, v98, v111
	v_fmamk_f16 v57, v54, 0xbaee, v56
	v_fmac_f16_e32 v56, 0x3aee, v54
	v_lshrrev_b32_e32 v54, 16, v58
	s_delay_alu instid0(VALU_DEP_3) | instskip(NEXT) | instid1(VALU_DEP_3)
	v_pack_b32_f16 v57, v57, v63
	v_pack_b32_f16 v53, v56, v53
	s_delay_alu instid0(VALU_DEP_3) | instskip(SKIP_4) | instid1(VALU_DEP_2)
	v_add_f16_e32 v56, v54, v65
	ds_store_2addr_b32 v171, v55, v57 offset1:8
	ds_store_b32 v171, v53 offset:64
	v_add_f16_e32 v53, v67, v68
	v_add_f16_e32 v55, v58, v67
	v_fmac_f16_e32 v58, -0.5, v53
	v_add_f16_e32 v53, v65, v66
	s_delay_alu instid0(VALU_DEP_1) | instskip(SKIP_1) | instid1(VALU_DEP_1)
	v_fmac_f16_e32 v54, -0.5, v53
	v_sub_f16_e32 v53, v65, v66
	v_fmamk_f16 v57, v53, 0xbaee, v58
	v_fmac_f16_e32 v58, 0x3aee, v53
	v_sub_f16_e32 v53, v67, v68
	s_delay_alu instid0(VALU_DEP_1) | instskip(SKIP_1) | instid1(VALU_DEP_1)
	v_fmamk_f16 v63, v53, 0x3aee, v54
	v_fmac_f16_e32 v54, 0xbaee, v53
	v_pack_b32_f16 v53, v58, v54
	v_add_f16_e32 v54, v55, v68
	v_add_f16_e32 v55, v56, v66
	s_delay_alu instid0(VALU_DEP_1)
	v_pack_b32_f16 v54, v54, v55
	v_pack_b32_f16 v55, v57, v63
	ds_store_2addr_b32 v170, v54, v55 offset1:8
	ds_store_b32 v170, v53 offset:64
	v_add_f16_e32 v53, v61, v62
	v_lshrrev_b32_e32 v54, 16, v60
	v_add_f16_e32 v55, v60, v61
	s_delay_alu instid0(VALU_DEP_3) | instskip(SKIP_1) | instid1(VALU_DEP_4)
	v_fmac_f16_e32 v60, -0.5, v53
	v_add_f16_e32 v53, v114, v115
	v_add_f16_e32 v56, v54, v114
	s_delay_alu instid0(VALU_DEP_2) | instskip(SKIP_1) | instid1(VALU_DEP_1)
	v_fmac_f16_e32 v54, -0.5, v53
	v_sub_f16_e32 v53, v114, v115
	v_fmamk_f16 v57, v53, 0xbaee, v60
	v_fmac_f16_e32 v60, 0x3aee, v53
	v_sub_f16_e32 v53, v61, v62
	v_add_f16_e32 v61, v99, v113
	s_delay_alu instid0(VALU_DEP_2) | instskip(SKIP_2) | instid1(VALU_DEP_2)
	v_fmamk_f16 v58, v53, 0x3aee, v54
	v_fmac_f16_e32 v54, 0xbaee, v53
	v_add_f16_e32 v53, v98, v111
	v_pack_b32_f16 v54, v60, v54
	v_lshrrev_b32_e32 v60, 16, v59
	s_delay_alu instid0(VALU_DEP_3) | instskip(SKIP_1) | instid1(VALU_DEP_3)
	v_fma_f16 v53, -0.5, v53, v59
	v_add_f16_e32 v59, v59, v98
	v_add_f16_e32 v63, v60, v99
	v_fmac_f16_e32 v60, -0.5, v61
	v_sub_f16_e32 v61, v99, v113
	s_delay_alu instid0(VALU_DEP_4) | instskip(NEXT) | instid1(VALU_DEP_4)
	v_add_f16_e32 v59, v59, v111
	v_add_f16_e32 v63, v63, v113
	s_delay_alu instid0(VALU_DEP_4) | instskip(SKIP_1) | instid1(VALU_DEP_3)
	v_fmamk_f16 v65, v64, 0x3aee, v60
	v_fmac_f16_e32 v60, 0xbaee, v64
	v_pack_b32_f16 v59, v59, v63
	v_fmamk_f16 v63, v61, 0xbaee, v53
	v_fmac_f16_e32 v53, 0x3aee, v61
	s_delay_alu instid0(VALU_DEP_2) | instskip(NEXT) | instid1(VALU_DEP_2)
	v_pack_b32_f16 v63, v63, v65
	v_pack_b32_f16 v53, v53, v60
	ds_store_2addr_b32 v174, v59, v63 offset1:8
	ds_store_b32 v174, v53 offset:64
	v_add_f16_e32 v53, v55, v62
	v_add_f16_e32 v55, v56, v115
	s_delay_alu instid0(VALU_DEP_1)
	v_pack_b32_f16 v53, v53, v55
	v_pack_b32_f16 v55, v57, v58
	ds_store_2addr_b32 v175, v53, v55 offset1:8
	ds_store_b32 v175, v54 offset:64
	global_wb scope:SCOPE_SE
	s_wait_dscnt 0x0
	s_barrier_signal -1
	s_barrier_wait -1
	global_inv scope:SCOPE_SE
	ds_load_2addr_b32 v[53:54], v136 offset0:120 offset1:183
	s_wait_dscnt 0x0
	v_lshrrev_b32_e32 v55, 16, v53
	v_mul_f16_e64 v56, v197, v53
	s_delay_alu instid0(VALU_DEP_2) | instskip(NEXT) | instid1(VALU_DEP_2)
	v_mul_f16_e64 v57, v197, v55
	v_fma_f16 v58, v51, v55, -v56
	ds_load_2addr_b32 v[55:56], v107 offset0:112 offset1:175
	v_fmac_f16_e32 v57, v51, v53
	v_lshrrev_b32_e32 v51, 16, v54
	s_delay_alu instid0(VALU_DEP_1) | instskip(NEXT) | instid1(VALU_DEP_1)
	v_mul_f16_e64 v53, v193, v51
	v_fmac_f16_e32 v53, v45, v54
	s_wait_dscnt 0x0
	v_lshrrev_b32_e32 v59, 16, v55
	v_mul_f16_e64 v60, v196, v55
	s_delay_alu instid0(VALU_DEP_2) | instskip(NEXT) | instid1(VALU_DEP_2)
	v_mul_f16_e64 v61, v196, v59
	v_fma_f16 v59, v52, v59, -v60
	v_mul_f16_e64 v60, v195, v56
	s_delay_alu instid0(VALU_DEP_3) | instskip(SKIP_2) | instid1(VALU_DEP_1)
	v_fmac_f16_e32 v61, v52, v55
	v_mul_f16_e64 v52, v193, v54
	v_lshrrev_b32_e32 v54, 16, v56
	v_mul_f16_e64 v55, v195, v54
	v_fma_f16 v54, v46, v54, -v60
	s_delay_alu instid0(VALU_DEP_2)
	v_fmac_f16_e32 v55, v46, v56
	v_fma_f16 v56, v45, v51, -v52
	ds_load_2addr_b32 v[45:46], v123 offset0:118 offset1:181
	s_wait_dscnt 0x0
	v_lshrrev_b32_e32 v51, 16, v45
	v_mul_f16_e64 v52, v214, v45
	s_delay_alu instid0(VALU_DEP_2) | instskip(NEXT) | instid1(VALU_DEP_2)
	v_mul_f16_e64 v60, v214, v51
	v_fma_f16 v62, v41, v51, -v52
	ds_load_2addr_b32 v[51:52], v112 offset0:110 offset1:173
	v_fmac_f16_e32 v60, v41, v45
	v_lshrrev_b32_e32 v41, 16, v46
	s_delay_alu instid0(VALU_DEP_1) | instskip(NEXT) | instid1(VALU_DEP_1)
	v_mul_f16_e64 v45, v210, v41
	v_fmac_f16_e32 v45, v37, v46
	s_wait_dscnt 0x0
	v_lshrrev_b32_e32 v63, 16, v51
	v_mul_f16_e64 v64, v213, v51
	s_delay_alu instid0(VALU_DEP_2) | instskip(NEXT) | instid1(VALU_DEP_2)
	v_mul_f16_e64 v65, v213, v63
	v_fma_f16 v63, v42, v63, -v64
	v_mul_f16_e64 v64, v211, v52
	s_delay_alu instid0(VALU_DEP_3) | instskip(SKIP_2) | instid1(VALU_DEP_1)
	v_fmac_f16_e32 v65, v42, v51
	v_mul_f16_e64 v42, v210, v46
	v_lshrrev_b32_e32 v46, 16, v52
	v_mul_f16_e64 v51, v211, v46
	v_fma_f16 v46, v38, v46, -v64
	s_delay_alu instid0(VALU_DEP_2)
	v_fmac_f16_e32 v51, v38, v52
	v_fma_f16 v52, v37, v41, -v42
	ds_load_2addr_b32 v[37:38], v73 offset0:116 offset1:179
	s_wait_dscnt 0x0
	v_lshrrev_b32_e32 v41, 16, v37
	v_mul_f16_e64 v42, v221, v37
	s_delay_alu instid0(VALU_DEP_2) | instskip(NEXT) | instid1(VALU_DEP_2)
	v_mul_f16_e64 v64, v221, v41
	v_fma_f16 v66, v49, v41, -v42
	ds_load_2addr_b32 v[41:42], v132 offset0:108 offset1:171
	v_fmac_f16_e32 v64, v49, v37
	v_lshrrev_b32_e32 v37, 16, v38
	s_delay_alu instid0(VALU_DEP_1) | instskip(NEXT) | instid1(VALU_DEP_1)
	v_mul_f16_e64 v49, v215, v37
	v_fmac_f16_e32 v49, v47, v38
	s_wait_dscnt 0x0
	v_lshrrev_b32_e32 v67, 16, v41
	v_mul_f16_e64 v68, v220, v41
	s_delay_alu instid0(VALU_DEP_2) | instskip(NEXT) | instid1(VALU_DEP_2)
	v_mul_f16_e64 v79, v220, v67
	v_fma_f16 v67, v50, v67, -v68
	v_mul_f16_e64 v68, v216, v42
	s_delay_alu instid0(VALU_DEP_3) | instskip(SKIP_2) | instid1(VALU_DEP_2)
	v_fmac_f16_e32 v79, v50, v41
	v_mul_f16_e64 v41, v215, v38
	v_lshrrev_b32_e32 v38, 16, v42
	v_fma_f16 v47, v47, v37, -v41
	s_delay_alu instid0(VALU_DEP_2) | instskip(NEXT) | instid1(VALU_DEP_1)
	v_mul_f16_e64 v50, v216, v38
	v_fmac_f16_e32 v50, v48, v42
	v_fma_f16 v48, v48, v38, -v68
	ds_load_2addr_b32 v[37:38], v78 offset0:114 offset1:177
	s_wait_dscnt 0x0
	v_lshrrev_b32_e32 v41, 16, v37
	v_mul_f16_e64 v42, v233, v37
	s_delay_alu instid0(VALU_DEP_2) | instskip(NEXT) | instid1(VALU_DEP_2)
	v_mul_f16_e64 v68, v233, v41
	v_fma_f16 v80, v43, v41, -v42
	ds_load_2addr_b32 v[41:42], v125 offset0:106 offset1:169
	v_fmac_f16_e32 v68, v43, v37
	v_lshrrev_b32_e32 v37, 16, v38
	s_wait_dscnt 0x0
	v_lshrrev_b32_e32 v81, 16, v41
	v_mul_f16_e64 v82, v232, v41
	v_mul_f16_e64 v43, v223, v42
	s_delay_alu instid0(VALU_DEP_3) | instskip(NEXT) | instid1(VALU_DEP_3)
	v_mul_f16_e64 v83, v232, v81
	v_fma_f16 v81, v44, v81, -v82
	v_mul_f16_e64 v82, v222, v37
	s_delay_alu instid0(VALU_DEP_3) | instskip(SKIP_1) | instid1(VALU_DEP_3)
	v_fmac_f16_e32 v83, v44, v41
	v_mul_f16_e64 v41, v222, v38
	v_fmac_f16_e32 v82, v39, v38
	v_lshrrev_b32_e32 v38, 16, v42
	s_delay_alu instid0(VALU_DEP_3) | instskip(SKIP_1) | instid1(VALU_DEP_3)
	v_fma_f16 v85, v39, v37, -v41
	v_add_f16_e32 v39, v58, v59
	v_mul_f16_e64 v84, v223, v38
	v_fma_f16 v91, v40, v38, -v43
	ds_load_2addr_b32 v[37:38], v93 offset1:63
	v_add_f16_e32 v41, v57, v61
	v_fmac_f16_e32 v84, v40, v42
	s_wait_dscnt 0x0
	v_lshrrev_b32_e32 v94, 16, v37
	v_add_f16_e32 v95, v38, v53
	s_delay_alu instid0(VALU_DEP_2) | instskip(SKIP_2) | instid1(VALU_DEP_3)
	v_add_f16_e32 v40, v94, v58
	v_fmac_f16_e32 v94, -0.5, v39
	v_sub_f16_e32 v58, v58, v59
	v_add_f16_e32 v39, v40, v59
	v_add_f16_e32 v40, v37, v57
	v_sub_f16_e32 v57, v57, v61
	v_fma_f16 v37, -0.5, v41, v37
	s_delay_alu instid0(VALU_DEP_3) | instskip(NEXT) | instid1(VALU_DEP_1)
	v_add_f16_e32 v40, v40, v61
	v_pack_b32_f16 v59, v40, v39
	s_delay_alu instid0(VALU_DEP_3) | instskip(SKIP_3) | instid1(VALU_DEP_3)
	v_fmamk_f16 v39, v58, 0xbaee, v37
	v_fmamk_f16 v40, v57, 0x3aee, v94
	v_fmac_f16_e32 v37, 0x3aee, v58
	v_fmac_f16_e32 v94, 0xbaee, v57
	v_pack_b32_f16 v61, v39, v40
	ds_load_2addr_b32 v[39:40], v93 offset0:126 offset1:189
	ds_load_2addr_b32 v[41:42], v127 offset0:124 offset1:187
	;; [unrolled: 1-line block ×3, first 2 shown]
	global_wb scope:SCOPE_SE
	s_wait_dscnt 0x0
	s_barrier_signal -1
	s_barrier_wait -1
	global_inv scope:SCOPE_SE
	scratch_load_b32 v98, off, off offset:124 th:TH_LOAD_LU ; 4-byte Folded Reload
	v_pack_b32_f16 v37, v37, v94
	s_wait_loadcnt 0x0
	ds_store_2addr_b32 v98, v59, v61 offset1:24
	v_add_f16_e32 v59, v53, v55
	v_lshrrev_b32_e32 v61, 16, v38
	v_sub_f16_e32 v53, v53, v55
	ds_store_b32 v98, v37 offset:192
	v_add_f16_e32 v37, v95, v55
	v_fmac_f16_e32 v38, -0.5, v59
	v_add_f16_e32 v59, v56, v54
	v_add_f16_e32 v97, v61, v56
	v_sub_f16_e32 v56, v56, v54
	v_add_f16_e32 v55, v60, v65
	s_delay_alu instid0(VALU_DEP_4) | instskip(NEXT) | instid1(VALU_DEP_3)
	v_fmac_f16_e32 v61, -0.5, v59
	v_fmamk_f16 v59, v56, 0xbaee, v38
	v_fmac_f16_e32 v38, 0x3aee, v56
	s_delay_alu instid0(VALU_DEP_3)
	v_fmamk_f16 v56, v53, 0x3aee, v61
	v_fmac_f16_e32 v61, 0xbaee, v53
	v_add_f16_e32 v53, v97, v54
	scratch_load_b32 v54, off, off offset:128 th:TH_LOAD_LU ; 4-byte Folded Reload
	v_pack_b32_f16 v38, v38, v61
	v_pack_b32_f16 v37, v37, v53
	;; [unrolled: 1-line block ×3, first 2 shown]
	v_sub_f16_e32 v56, v60, v65
	s_wait_loadcnt 0x0
	ds_store_2addr_b32 v54, v37, v53 offset1:24
	ds_store_b32 v54, v38 offset:192
	v_lshrrev_b32_e32 v37, 16, v39
	v_add_f16_e32 v38, v62, v63
	v_add_f16_e32 v54, v39, v60
	v_fma_f16 v39, -0.5, v55, v39
	s_delay_alu instid0(VALU_DEP_4) | instskip(NEXT) | instid1(VALU_DEP_4)
	v_add_f16_e32 v53, v37, v62
	v_fmac_f16_e32 v37, -0.5, v38
	v_sub_f16_e32 v38, v62, v63
	v_add_f16_e32 v54, v54, v65
	s_delay_alu instid0(VALU_DEP_4) | instskip(NEXT) | instid1(VALU_DEP_4)
	v_add_f16_e32 v53, v53, v63
	v_fmamk_f16 v55, v56, 0x3aee, v37
	v_fmac_f16_e32 v37, 0xbaee, v56
	s_delay_alu instid0(VALU_DEP_3) | instskip(SKIP_3) | instid1(VALU_DEP_3)
	v_pack_b32_f16 v53, v54, v53
	v_fmamk_f16 v54, v38, 0xbaee, v39
	v_fmac_f16_e32 v39, 0x3aee, v38
	v_lshrrev_b32_e32 v38, 16, v40
	v_pack_b32_f16 v54, v54, v55
	scratch_load_b32 v55, off, off offset:136 th:TH_LOAD_LU ; 4-byte Folded Reload
	v_pack_b32_f16 v37, v39, v37
	v_add_f16_e32 v39, v40, v45
	s_wait_loadcnt 0x0
	ds_store_b32 v55, v37 offset:192
	v_add_f16_e32 v37, v45, v51
	ds_store_2addr_b32 v55, v53, v54 offset1:24
	v_add_f16_e32 v53, v38, v52
	v_fmac_f16_e32 v40, -0.5, v37
	v_add_f16_e32 v37, v52, v46
	s_delay_alu instid0(VALU_DEP_1) | instskip(SKIP_1) | instid1(VALU_DEP_1)
	v_fmac_f16_e32 v38, -0.5, v37
	v_sub_f16_e32 v37, v52, v46
	v_fmamk_f16 v52, v37, 0xbaee, v40
	v_fmac_f16_e32 v40, 0x3aee, v37
	v_sub_f16_e32 v37, v45, v51
	s_delay_alu instid0(VALU_DEP_1) | instskip(SKIP_1) | instid1(VALU_DEP_1)
	v_fmamk_f16 v45, v37, 0x3aee, v38
	v_fmac_f16_e32 v38, 0xbaee, v37
	v_pack_b32_f16 v37, v40, v38
	scratch_load_b32 v40, off, off offset:132 th:TH_LOAD_LU ; 4-byte Folded Reload
	v_add_f16_e32 v38, v39, v51
	v_add_f16_e32 v39, v53, v46
	v_sub_f16_e32 v46, v64, v79
	s_delay_alu instid0(VALU_DEP_2)
	v_pack_b32_f16 v38, v38, v39
	v_pack_b32_f16 v39, v52, v45
	v_add_f16_e32 v45, v64, v79
	s_wait_loadcnt 0x0
	ds_store_2addr_b32 v40, v38, v39 offset1:24
	ds_store_b32 v40, v37 offset:192
	v_lshrrev_b32_e32 v37, 16, v41
	v_add_f16_e32 v40, v41, v64
	v_add_f16_e32 v38, v66, v67
	s_delay_alu instid0(VALU_DEP_3) | instskip(NEXT) | instid1(VALU_DEP_3)
	v_add_f16_e32 v39, v37, v66
	v_add_f16_e32 v40, v40, v79
	s_delay_alu instid0(VALU_DEP_3) | instskip(SKIP_1) | instid1(VALU_DEP_4)
	v_fmac_f16_e32 v37, -0.5, v38
	v_sub_f16_e32 v38, v66, v67
	v_add_f16_e32 v39, v39, v67
	s_delay_alu instid0(VALU_DEP_1) | instskip(SKIP_3) | instid1(VALU_DEP_3)
	v_pack_b32_f16 v39, v40, v39
	v_fma_f16 v40, -0.5, v45, v41
	v_fmamk_f16 v45, v46, 0x3aee, v37
	v_fmac_f16_e32 v37, 0xbaee, v46
	v_fmamk_f16 v41, v38, 0xbaee, v40
	v_fmac_f16_e32 v40, 0x3aee, v38
	v_lshrrev_b32_e32 v38, 16, v42
	s_delay_alu instid0(VALU_DEP_3)
	v_pack_b32_f16 v41, v41, v45
	scratch_load_b32 v45, off, off offset:144 th:TH_LOAD_LU ; 4-byte Folded Reload
	v_pack_b32_f16 v37, v40, v37
	v_add_f16_e32 v40, v38, v47
	s_wait_loadcnt 0x0
	ds_store_b32 v45, v37 offset:192
	v_add_f16_e32 v37, v49, v50
	ds_store_2addr_b32 v45, v39, v41 offset1:24
	v_add_f16_e32 v39, v42, v49
	v_fmac_f16_e32 v42, -0.5, v37
	v_add_f16_e32 v37, v47, v48
	s_delay_alu instid0(VALU_DEP_1) | instskip(SKIP_2) | instid1(VALU_DEP_2)
	v_fmac_f16_e32 v38, -0.5, v37
	v_sub_f16_e32 v37, v47, v48
	v_sub_f16_e32 v47, v68, v83
	v_fmamk_f16 v41, v37, 0xbaee, v42
	v_fmac_f16_e32 v42, 0x3aee, v37
	v_sub_f16_e32 v37, v49, v50
	s_delay_alu instid0(VALU_DEP_1) | instskip(SKIP_1) | instid1(VALU_DEP_1)
	v_fmamk_f16 v45, v37, 0x3aee, v38
	v_fmac_f16_e32 v38, 0xbaee, v37
	v_pack_b32_f16 v37, v42, v38
	v_add_f16_e32 v38, v39, v50
	v_add_f16_e32 v39, v40, v48
	scratch_load_b32 v40, off, off offset:140 th:TH_LOAD_LU ; 4-byte Folded Reload
	v_pack_b32_f16 v38, v38, v39
	v_pack_b32_f16 v39, v41, v45
	v_add_f16_e32 v45, v80, v81
	s_wait_loadcnt 0x0
	ds_store_2addr_b32 v40, v38, v39 offset1:24
	ds_store_b32 v40, v37 offset:192
	v_add_f16_e32 v37, v82, v84
	v_lshrrev_b32_e32 v38, 16, v44
	v_add_f16_e32 v39, v44, v82
	s_delay_alu instid0(VALU_DEP_3) | instskip(SKIP_1) | instid1(VALU_DEP_4)
	v_fmac_f16_e32 v44, -0.5, v37
	v_add_f16_e32 v37, v85, v91
	v_add_f16_e32 v40, v38, v85
	s_delay_alu instid0(VALU_DEP_2) | instskip(SKIP_1) | instid1(VALU_DEP_1)
	v_fmac_f16_e32 v38, -0.5, v37
	v_sub_f16_e32 v37, v85, v91
	v_fmamk_f16 v41, v37, 0xbaee, v44
	v_fmac_f16_e32 v44, 0x3aee, v37
	v_sub_f16_e32 v37, v82, v84
	s_delay_alu instid0(VALU_DEP_1) | instskip(SKIP_2) | instid1(VALU_DEP_2)
	v_fmamk_f16 v42, v37, 0x3aee, v38
	v_fmac_f16_e32 v38, 0xbaee, v37
	v_add_f16_e32 v37, v68, v83
	v_pack_b32_f16 v38, v44, v38
	v_lshrrev_b32_e32 v44, 16, v43
	s_delay_alu instid0(VALU_DEP_3) | instskip(SKIP_1) | instid1(VALU_DEP_3)
	v_fma_f16 v37, -0.5, v37, v43
	v_add_f16_e32 v43, v43, v68
	v_add_f16_e32 v46, v44, v80
	v_fmac_f16_e32 v44, -0.5, v45
	v_sub_f16_e32 v45, v80, v81
	s_delay_alu instid0(VALU_DEP_4) | instskip(NEXT) | instid1(VALU_DEP_4)
	v_add_f16_e32 v43, v43, v83
	v_add_f16_e32 v46, v46, v81
	s_delay_alu instid0(VALU_DEP_4) | instskip(SKIP_1) | instid1(VALU_DEP_3)
	v_fmamk_f16 v48, v47, 0x3aee, v44
	v_fmac_f16_e32 v44, 0xbaee, v47
	v_pack_b32_f16 v43, v43, v46
	v_fmamk_f16 v46, v45, 0xbaee, v37
	v_fmac_f16_e32 v37, 0x3aee, v45
	v_lshrrev_b32_e32 v45, 16, v34
	s_delay_alu instid0(VALU_DEP_3)
	v_pack_b32_f16 v46, v46, v48
	scratch_load_b32 v48, off, off offset:148 th:TH_LOAD_LU ; 4-byte Folded Reload
	v_pack_b32_f16 v37, v37, v44
	s_wait_loadcnt 0x0
	ds_store_b32 v48, v37 offset:192
	v_add_f16_e32 v37, v39, v84
	v_add_f16_e32 v39, v40, v91
	scratch_load_b32 v40, off, off offset:152 th:TH_LOAD_LU ; 4-byte Folded Reload
	ds_store_2addr_b32 v48, v43, v46 offset1:24
	v_pack_b32_f16 v37, v37, v39
	v_pack_b32_f16 v39, v41, v42
	v_lshrrev_b32_e32 v41, 16, v33
	s_wait_loadcnt 0x0
	ds_store_2addr_b32 v40, v37, v39 offset1:24
	ds_store_b32 v40, v38 offset:192
	global_wb scope:SCOPE_SE
	s_wait_dscnt 0x0
	s_barrier_signal -1
	s_barrier_wait -1
	global_inv scope:SCOPE_SE
	ds_load_2addr_b32 v[37:38], v136 offset0:120 offset1:183
	s_wait_dscnt 0x0
	v_lshrrev_b32_e32 v39, 16, v37
	v_mul_f16_e32 v40, v41, v37
	s_delay_alu instid0(VALU_DEP_2) | instskip(NEXT) | instid1(VALU_DEP_2)
	v_mul_f16_e32 v41, v41, v39
	v_fma_f16 v42, v33, v39, -v40
	ds_load_2addr_b32 v[39:40], v107 offset0:112 offset1:175
	v_fmac_f16_e32 v41, v33, v37
	v_lshrrev_b32_e32 v33, 16, v38
	s_wait_dscnt 0x0
	v_lshrrev_b32_e32 v43, 16, v39
	v_mul_f16_e32 v44, v45, v39
	s_delay_alu instid0(VALU_DEP_2) | instskip(NEXT) | instid1(VALU_DEP_2)
	v_mul_f16_e32 v45, v45, v43
	v_fma_f16 v43, v34, v43, -v44
	v_lshrrev_b32_e32 v44, 16, v26
	s_delay_alu instid0(VALU_DEP_3) | instskip(SKIP_1) | instid1(VALU_DEP_1)
	v_fmac_f16_e32 v45, v34, v39
	v_lshrrev_b32_e32 v34, 16, v25
	v_mul_f16_e32 v37, v34, v33
	v_mul_f16_e32 v34, v34, v38
	s_delay_alu instid0(VALU_DEP_2) | instskip(SKIP_1) | instid1(VALU_DEP_1)
	v_fmac_f16_e32 v37, v25, v38
	v_lshrrev_b32_e32 v38, 16, v40
	v_mul_f16_e32 v39, v44, v38
	v_mul_f16_e32 v44, v44, v40
	s_delay_alu instid0(VALU_DEP_2) | instskip(SKIP_1) | instid1(VALU_DEP_3)
	v_fmac_f16_e32 v39, v26, v40
	v_fma_f16 v40, v25, v33, -v34
	v_fma_f16 v38, v26, v38, -v44
	ds_load_2addr_b32 v[25:26], v123 offset0:118 offset1:181
	s_wait_dscnt 0x0
	v_lshrrev_b32_e32 v33, 16, v25
	v_mul_f16_e64 v34, v177, v25
	s_delay_alu instid0(VALU_DEP_2) | instskip(NEXT) | instid1(VALU_DEP_2)
	v_mul_f16_e64 v44, v177, v33
	v_fma_f16 v46, v23, v33, -v34
	ds_load_2addr_b32 v[33:34], v112 offset0:110 offset1:173
	v_fmac_f16_e32 v44, v23, v25
	v_lshrrev_b32_e32 v23, 16, v26
	s_delay_alu instid0(VALU_DEP_1) | instskip(NEXT) | instid1(VALU_DEP_1)
	v_mul_f16_e64 v25, v172, v23
	v_fmac_f16_e32 v25, v19, v26
	s_wait_dscnt 0x0
	v_lshrrev_b32_e32 v47, 16, v33
	v_mul_f16_e64 v48, v176, v33
	s_delay_alu instid0(VALU_DEP_2) | instskip(NEXT) | instid1(VALU_DEP_2)
	v_mul_f16_e64 v49, v176, v47
	v_fma_f16 v47, v24, v47, -v48
	v_mul_f16_e64 v48, v173, v34
	s_delay_alu instid0(VALU_DEP_3) | instskip(SKIP_2) | instid1(VALU_DEP_1)
	v_fmac_f16_e32 v49, v24, v33
	v_mul_f16_e64 v24, v172, v26
	v_lshrrev_b32_e32 v26, 16, v34
	v_mul_f16_e64 v33, v173, v26
	v_fma_f16 v26, v20, v26, -v48
	s_delay_alu instid0(VALU_DEP_2)
	v_fmac_f16_e32 v33, v20, v34
	v_fma_f16 v34, v19, v23, -v24
	ds_load_2addr_b32 v[19:20], v73 offset0:116 offset1:179
	s_wait_dscnt 0x0
	v_lshrrev_b32_e32 v23, 16, v19
	v_mul_f16_e64 v24, v182, v19
	s_delay_alu instid0(VALU_DEP_2) | instskip(NEXT) | instid1(VALU_DEP_2)
	v_mul_f16_e64 v48, v182, v23
	v_fma_f16 v50, v31, v23, -v24
	ds_load_2addr_b32 v[23:24], v132 offset0:108 offset1:171
	v_fmac_f16_e32 v48, v31, v19
	v_lshrrev_b32_e32 v19, 16, v20
	s_delay_alu instid0(VALU_DEP_1) | instskip(NEXT) | instid1(VALU_DEP_1)
	v_mul_f16_e64 v31, v179, v19
	v_fmac_f16_e32 v31, v27, v20
	s_wait_dscnt 0x0
	v_lshrrev_b32_e32 v51, 16, v23
	v_mul_f16_e64 v52, v181, v23
	s_delay_alu instid0(VALU_DEP_2) | instskip(NEXT) | instid1(VALU_DEP_2)
	v_mul_f16_e64 v53, v181, v51
	v_fma_f16 v51, v32, v51, -v52
	v_mul_f16_e64 v52, v180, v24
	s_delay_alu instid0(VALU_DEP_3) | instskip(SKIP_2) | instid1(VALU_DEP_2)
	v_fmac_f16_e32 v53, v32, v23
	v_mul_f16_e64 v23, v179, v20
	v_lshrrev_b32_e32 v20, 16, v24
	v_fma_f16 v27, v27, v19, -v23
	s_delay_alu instid0(VALU_DEP_2) | instskip(NEXT) | instid1(VALU_DEP_1)
	v_mul_f16_e64 v32, v180, v20
	v_fmac_f16_e32 v32, v28, v24
	v_fma_f16 v28, v28, v20, -v52
	ds_load_2addr_b32 v[19:20], v78 offset0:114 offset1:177
	s_wait_dscnt 0x0
	v_lshrrev_b32_e32 v23, 16, v19
	v_mul_f16_e64 v24, v191, v19
	s_delay_alu instid0(VALU_DEP_2) | instskip(NEXT) | instid1(VALU_DEP_2)
	v_mul_f16_e64 v52, v191, v23
	v_fma_f16 v54, v21, v23, -v24
	ds_load_2addr_b32 v[23:24], v125 offset0:106 offset1:169
	v_fmac_f16_e32 v52, v21, v19
	v_lshrrev_b32_e32 v19, 16, v20
	v_mul_f16_e64 v21, v194, v20
	s_wait_dscnt 0x0
	v_lshrrev_b32_e32 v55, 16, v23
	v_mul_f16_e64 v56, v190, v23
	s_delay_alu instid0(VALU_DEP_2) | instskip(NEXT) | instid1(VALU_DEP_2)
	v_mul_f16_e64 v57, v190, v55
	v_fma_f16 v55, v22, v55, -v56
	v_mul_f16_e64 v56, v194, v19
	s_delay_alu instid0(VALU_DEP_3) | instskip(SKIP_1) | instid1(VALU_DEP_3)
	v_fmac_f16_e32 v57, v22, v23
	v_mul_f16_e64 v22, v192, v24
	v_fmac_f16_e32 v56, v17, v20
	v_lshrrev_b32_e32 v20, 16, v24
	s_delay_alu instid0(VALU_DEP_1) | instskip(NEXT) | instid1(VALU_DEP_4)
	v_mul_f16_e64 v58, v192, v20
	v_fma_f16 v59, v18, v20, -v22
	s_delay_alu instid0(VALU_DEP_2)
	v_fmac_f16_e32 v58, v18, v24
	v_fma_f16 v24, v17, v19, -v21
	ds_load_2addr_b32 v[18:19], v93 offset1:63
	v_add_f16_e32 v17, v42, v43
	v_add_f16_e32 v21, v41, v45
	s_wait_dscnt 0x0
	v_lshrrev_b32_e32 v60, 16, v18
	v_add_f16_e32 v62, v19, v37
	s_delay_alu instid0(VALU_DEP_2) | instskip(SKIP_2) | instid1(VALU_DEP_3)
	v_add_f16_e32 v20, v60, v42
	v_fmac_f16_e32 v60, -0.5, v17
	v_sub_f16_e32 v42, v42, v43
	v_add_f16_e32 v17, v20, v43
	v_add_f16_e32 v20, v18, v41
	v_sub_f16_e32 v41, v41, v45
	s_delay_alu instid0(VALU_DEP_2) | instskip(SKIP_1) | instid1(VALU_DEP_3)
	v_add_f16_e32 v20, v20, v45
	v_fma_f16 v45, -0.5, v21, v18
	v_fmamk_f16 v18, v41, 0x3aee, v60
	v_fmac_f16_e32 v60, 0xbaee, v41
	v_sub_f16_e32 v41, v44, v49
	v_pack_b32_f16 v43, v20, v17
	v_fmamk_f16 v17, v42, 0xbaee, v45
	v_fmac_f16_e32 v45, 0x3aee, v42
	s_delay_alu instid0(VALU_DEP_2)
	v_pack_b32_f16 v61, v17, v18
	ds_load_2addr_b32 v[20:21], v127 offset0:124 offset1:187
	ds_load_2addr_b32 v[22:23], v93 offset0:126 offset1:189
	;; [unrolled: 1-line block ×3, first 2 shown]
	global_wb scope:SCOPE_SE
	s_wait_dscnt 0x0
	s_barrier_signal -1
	s_barrier_wait -1
	global_inv scope:SCOPE_SE
	ds_store_2addr_b32 v93, v43, v61 offset1:72
	v_add_f16_e32 v43, v37, v39
	v_lshrrev_b32_e32 v61, 16, v19
	v_sub_f16_e32 v37, v37, v39
	s_delay_alu instid0(VALU_DEP_3) | instskip(SKIP_1) | instid1(VALU_DEP_4)
	v_fmac_f16_e32 v19, -0.5, v43
	v_add_f16_e32 v43, v40, v38
	v_add_f16_e32 v63, v61, v40
	v_sub_f16_e32 v40, v40, v38
	s_delay_alu instid0(VALU_DEP_3) | instskip(NEXT) | instid1(VALU_DEP_3)
	v_fmac_f16_e32 v61, -0.5, v43
	v_add_f16_e32 v38, v63, v38
	s_delay_alu instid0(VALU_DEP_3) | instskip(SKIP_1) | instid1(VALU_DEP_4)
	v_fmamk_f16 v43, v40, 0xbaee, v19
	v_fmac_f16_e32 v19, 0x3aee, v40
	v_fmamk_f16 v40, v37, 0x3aee, v61
	v_fmac_f16_e32 v61, 0xbaee, v37
	v_add_f16_e32 v37, v62, v39
	v_pack_b32_f16 v39, v45, v60
	v_lshrrev_b32_e32 v45, 16, v18
	s_delay_alu instid0(VALU_DEP_4) | instskip(NEXT) | instid1(VALU_DEP_4)
	v_pack_b32_f16 v19, v19, v61
	v_pack_b32_f16 v37, v37, v38
	ds_store_b32 v93, v39 offset:576
	scratch_load_b32 v39, off, off offset:96 th:TH_LOAD_LU ; 4-byte Folded Reload
	v_pack_b32_f16 v38, v43, v40
	s_wait_loadcnt 0x0
	ds_store_2addr_b32 v39, v37, v38 offset1:72
	ds_store_b32 v39, v19 offset:576
	v_lshrrev_b32_e32 v19, 16, v22
	v_add_f16_e32 v37, v46, v47
	v_add_f16_e32 v40, v44, v49
	;; [unrolled: 1-line block ×3, first 2 shown]
	s_delay_alu instid0(VALU_DEP_4) | instskip(NEXT) | instid1(VALU_DEP_4)
	v_add_f16_e32 v38, v19, v46
	v_fmac_f16_e32 v19, -0.5, v37
	v_sub_f16_e32 v37, v46, v47
	v_fma_f16 v22, -0.5, v40, v22
	v_add_f16_e32 v39, v39, v49
	v_add_f16_e32 v38, v38, v47
	v_sub_f16_e32 v47, v56, v58
	s_delay_alu instid0(VALU_DEP_4)
	v_fmamk_f16 v40, v37, 0xbaee, v22
	v_fmac_f16_e32 v22, 0x3aee, v37
	v_fmamk_f16 v37, v41, 0x3aee, v19
	v_fmac_f16_e32 v19, 0xbaee, v41
	v_pack_b32_f16 v38, v39, v38
	v_lshrrev_b32_e32 v39, 16, v23
	s_delay_alu instid0(VALU_DEP_4) | instskip(NEXT) | instid1(VALU_DEP_4)
	v_pack_b32_f16 v37, v40, v37
	v_pack_b32_f16 v19, v22, v19
	v_add_f16_e32 v22, v25, v33
	v_add_f16_e32 v40, v23, v25
	;; [unrolled: 1-line block ×3, first 2 shown]
	s_delay_alu instid0(VALU_DEP_3) | instskip(SKIP_1) | instid1(VALU_DEP_1)
	v_fmac_f16_e32 v23, -0.5, v22
	v_add_f16_e32 v22, v34, v26
	v_fmac_f16_e32 v39, -0.5, v22
	v_sub_f16_e32 v22, v34, v26
	v_add_f16_e32 v26, v41, v26
	s_delay_alu instid0(VALU_DEP_2) | instskip(SKIP_4) | instid1(VALU_DEP_3)
	v_fmamk_f16 v34, v22, 0xbaee, v23
	v_fmac_f16_e32 v23, 0x3aee, v22
	v_sub_f16_e32 v22, v25, v33
	v_add_f16_e32 v25, v40, v33
	v_add_f16_e32 v40, v17, v52
	v_fmamk_f16 v33, v22, 0x3aee, v39
	v_fmac_f16_e32 v39, 0xbaee, v22
	s_delay_alu instid0(VALU_DEP_4)
	v_pack_b32_f16 v22, v25, v26
	scratch_load_b32 v26, off, off offset:112 th:TH_LOAD_LU ; 4-byte Folded Reload
	s_wait_loadcnt 0x0
	ds_store_2addr_b32 v26, v38, v37 offset1:72
	ds_store_b32 v26, v19 offset:576
	scratch_load_b32 v49, off, off offset:100 th:TH_LOAD_LU ; 4-byte Folded Reload
	v_pack_b32_f16 v23, v23, v39
	v_pack_b32_f16 v25, v34, v33
	v_add_f16_e32 v19, v48, v53
	v_add_f16_e32 v26, v20, v48
	;; [unrolled: 1-line block ×4, first 2 shown]
	s_delay_alu instid0(VALU_DEP_4) | instskip(SKIP_2) | instid1(VALU_DEP_2)
	v_fma_f16 v33, -0.5, v19, v20
	v_sub_f16_e32 v19, v50, v51
	v_add_f16_e32 v26, v26, v53
	v_fmamk_f16 v34, v19, 0xbaee, v33
	v_fmac_f16_e32 v33, 0x3aee, v19
	v_add_f16_e32 v19, v31, v32
	s_wait_loadcnt 0x0
	ds_store_b32 v49, v23 offset:576
	scratch_load_b32 v23, off, off offset:108 th:TH_LOAD_LU ; 4-byte Folded Reload
	ds_store_2addr_b32 v49, v22, v25 offset1:72
	v_lshrrev_b32_e32 v22, 16, v20
	v_add_f16_e32 v25, v50, v51
	s_delay_alu instid0(VALU_DEP_2) | instskip(NEXT) | instid1(VALU_DEP_2)
	v_add_f16_e32 v20, v22, v50
	v_fmac_f16_e32 v22, -0.5, v25
	v_sub_f16_e32 v25, v48, v53
	s_delay_alu instid0(VALU_DEP_3) | instskip(SKIP_1) | instid1(VALU_DEP_3)
	v_add_f16_e32 v37, v20, v51
	v_add_f16_e32 v20, v27, v28
	v_fmamk_f16 v38, v25, 0x3aee, v22
	v_fmac_f16_e32 v22, 0xbaee, v25
	v_lshrrev_b32_e32 v25, 16, v21
	v_fmac_f16_e32 v21, -0.5, v19
	v_sub_f16_e32 v19, v27, v28
	s_delay_alu instid0(VALU_DEP_4) | instskip(NEXT) | instid1(VALU_DEP_4)
	v_pack_b32_f16 v22, v33, v22
	v_add_f16_e32 v27, v25, v27
	v_fmac_f16_e32 v25, -0.5, v20
	v_sub_f16_e32 v20, v31, v32
	v_add_f16_e32 v31, v39, v32
	v_fmamk_f16 v32, v19, 0xbaee, v21
	v_fmac_f16_e32 v21, 0x3aee, v19
	v_add_f16_e32 v19, v52, v57
	v_add_f16_e32 v27, v27, v28
	v_fmamk_f16 v28, v20, 0x3aee, v25
	v_fmac_f16_e32 v25, 0xbaee, v20
	v_lshrrev_b32_e32 v39, 16, v17
	v_add_f16_e32 v20, v54, v55
	v_fma_f16 v41, -0.5, v19, v17
	v_sub_f16_e32 v17, v54, v55
	v_pack_b32_f16 v27, v31, v27
	v_add_f16_e32 v19, v39, v54
	v_fmac_f16_e32 v39, -0.5, v20
	v_sub_f16_e32 v20, v52, v57
	v_fmamk_f16 v42, v17, 0xbaee, v41
	v_fmac_f16_e32 v41, 0x3aee, v17
	v_add_f16_e32 v17, v56, v58
	v_add_f16_e32 v43, v19, v55
	v_fmamk_f16 v44, v20, 0x3aee, v39
	v_fmac_f16_e32 v39, 0xbaee, v20
	v_add_f16_e32 v19, v24, v59
	v_add_f16_e32 v20, v18, v56
	v_fmac_f16_e32 v18, -0.5, v17
	v_sub_f16_e32 v17, v24, v59
	v_add_f16_e32 v24, v45, v24
	v_fmac_f16_e32 v45, -0.5, v19
	v_add_f16_e32 v19, v20, v58
	v_pack_b32_f16 v21, v21, v25
	v_fmamk_f16 v20, v17, 0xbaee, v18
	v_fmac_f16_e32 v18, 0x3aee, v17
	v_add_f16_e32 v17, v24, v59
	v_pack_b32_f16 v24, v26, v37
	v_pack_b32_f16 v26, v34, v38
	s_wait_loadcnt 0x0
	ds_store_2addr_b32 v23, v24, v26 offset1:72
	ds_store_b32 v23, v22 offset:576
	scratch_load_b32 v31, off, off offset:104 th:TH_LOAD_LU ; 4-byte Folded Reload
	v_pack_b32_f16 v28, v32, v28
	scratch_load_b32 v32, off, off offset:120 th:TH_LOAD_LU ; 4-byte Folded Reload
	v_fmamk_f16 v46, v47, 0x3aee, v45
	v_fmac_f16_e32 v45, 0xbaee, v47
	v_pack_b32_f16 v22, v40, v43
	v_pack_b32_f16 v23, v42, v44
	;; [unrolled: 1-line block ×5, first 2 shown]
	s_wait_loadcnt 0x1
	ds_store_b32 v31, v21 offset:576
	scratch_load_b32 v21, off, off offset:116 th:TH_LOAD_LU ; 4-byte Folded Reload
	ds_store_2addr_b32 v31, v27, v28 offset1:72
	s_wait_loadcnt 0x1
	v_add_nc_u32_e32 v27, 0x1400, v32
	v_pack_b32_f16 v28, v18, v45
	s_wait_loadcnt 0x0
	ds_store_2addr_b32 v21, v22, v23 offset1:72
	ds_store_b32 v21, v24 offset:576
	ds_store_2addr_b32 v27, v25, v26 offset0:16 offset1:88
	ds_store_b32 v32, v28 offset:5760
	global_wb scope:SCOPE_SE
	s_wait_dscnt 0x0
	s_barrier_signal -1
	s_barrier_wait -1
	global_inv scope:SCOPE_SE
	ds_load_2addr_b32 v[23:24], v93 offset1:63
	ds_load_2addr_b32 v[21:22], v93 offset0:126 offset1:216
	ds_load_2addr_b32 v[43:44], v77 offset0:176 offset1:239
	;; [unrolled: 1-line block ×9, first 2 shown]
	ds_load_b32 v47, v93 offset:5688
	s_and_saveexec_b32 s0, vcc_lo
	s_cbranch_execz .LBB0_7
; %bb.6:
	v_add_nc_u32_e32 v17, 0x280, v93
	v_add_nc_u32_e32 v18, 0x980, v93
	ds_load_2addr_b32 v[71:72], v112 offset0:29 offset1:245
	ds_load_b32 v235, v93 offset:5940
	ds_load_2addr_b32 v[19:20], v17 offset0:29 offset1:245
	ds_load_2addr_b32 v[73:74], v18 offset0:13 offset1:229
	s_wait_dscnt 0x3
	v_lshrrev_b32_e32 v86, 16, v71
	v_lshrrev_b32_e32 v230, 16, v72
	s_wait_dscnt 0x2
	v_lshrrev_b32_e32 v237, 16, v235
	s_wait_dscnt 0x0
	v_mov_b32_e32 v18, v73
	v_lshrrev_b32_e32 v17, 16, v19
	v_lshrrev_b32_e32 v46, 16, v20
	;; [unrolled: 1-line block ×4, first 2 shown]
.LBB0_7:
	s_wait_alu 0xfffe
	s_or_b32 exec_lo, exec_lo, s0
	s_wait_dscnt 0x9
	v_lshrrev_b32_e32 v49, 16, v22
	s_wait_dscnt 0x8
	v_lshrrev_b32_e32 v50, 16, v43
	;; [unrolled: 2-line block ×4, first 2 shown]
	v_lshrrev_b32_e32 v52, 16, v41
	v_mul_f16_e32 v65, v87, v49
	v_mul_f16_e64 v78, v169, v50
	v_mul_f16_e64 v79, v169, v43
	v_mul_f16_e32 v80, v90, v51
	s_wait_dscnt 0x4
	v_lshrrev_b32_e32 v54, 16, v39
	v_fmac_f16_e32 v65, v4, v22
	v_mul_f16_e32 v22, v87, v22
	v_fmac_f16_e32 v78, v5, v43
	v_mul_f16_e32 v43, v88, v53
	s_wait_dscnt 0x3
	v_lshrrev_b32_e32 v56, 16, v37
	v_lshrrev_b32_e32 v57, 16, v44
	v_fma_f16 v4, v4, v49, -v22
	v_mul_f16_e32 v49, v88, v28
	v_mul_f16_e32 v81, v90, v32
	v_fmac_f16_e32 v80, v6, v32
	v_mul_f16_e32 v22, v92, v52
	v_mul_f16_e32 v32, v92, v41
	v_fmac_f16_e32 v43, v35, v28
	v_fma_f16 v28, v35, v53, -v49
	v_lshrrev_b32_e32 v49, 16, v1
	s_wait_dscnt 0x2
	v_lshrrev_b32_e32 v58, 16, v33
	v_fma_f16 v5, v5, v50, -v79
	v_mul_f16_e32 v50, v89, v54
	v_fmac_f16_e32 v22, v7, v41
	v_fma_f16 v7, v7, v52, -v32
	v_mul_f16_e32 v32, v89, v39
	v_mul_f16_e32 v35, v120, v56
	;; [unrolled: 1-line block ×3, first 2 shown]
	v_lshrrev_b32_e32 v59, 16, v42
	s_wait_dscnt 0x1
	v_lshrrev_b32_e32 v60, 16, v25
	v_fmac_f16_e32 v50, v36, v39
	v_mul_f16_e32 v39, v120, v37
	v_mul_f16_e32 v49, v49, v44
	v_fma_f16 v32, v36, v54, -v32
	v_fmac_f16_e32 v35, v0, v37
	v_fmac_f16_e32 v41, v1, v44
	v_mul_f16_e32 v36, v110, v58
	v_mul_f16_e32 v37, v110, v33
	v_lshrrev_b32_e32 v44, 16, v3
	v_lshrrev_b32_e32 v61, 16, v40
	;; [unrolled: 1-line block ×3, first 2 shown]
	v_fma_f16 v0, v0, v56, -v39
	v_fma_f16 v1, v1, v57, -v49
	v_mul_f16_e32 v39, v44, v59
	v_mul_f16_e32 v44, v44, v42
	;; [unrolled: 1-line block ×3, first 2 shown]
	v_fmac_f16_e32 v36, v2, v33
	v_fma_f16 v2, v2, v58, -v37
	v_lshrrev_b32_e32 v37, 16, v30
	v_lshrrev_b32_e32 v64, 16, v31
	;; [unrolled: 1-line block ×4, first 2 shown]
	v_fmac_f16_e32 v39, v3, v42
	v_fma_f16 v3, v3, v59, -v44
	v_fmac_f16_e32 v49, v29, v25
	v_mul_f16_e32 v25, v96, v25
	v_mul_f16_e32 v33, v37, v61
	;; [unrolled: 1-line block ×5, first 2 shown]
	v_lshrrev_b32_e32 v68, 16, v26
	s_wait_dscnt 0x0
	v_lshrrev_b32_e32 v73, 16, v47
	v_fma_f16 v25, v29, v60, -v25
	v_fmac_f16_e32 v33, v30, v40
	v_fma_f16 v29, v30, v61, -v37
	v_fmac_f16_e32 v42, v12, v38
	v_fma_f16 v12, v12, v63, -v44
	v_mul_f16_e64 v30, v240, v64
	v_mul_f16_e64 v37, v240, v31
	;; [unrolled: 1-line block ×5, first 2 shown]
	v_fmac_f16_e32 v30, v13, v31
	v_fma_f16 v13, v13, v64, -v37
	v_fmac_f16_e32 v38, v14, v34
	v_fma_f16 v14, v14, v66, -v40
	v_fmac_f16_e32 v44, v15, v27
	v_mul_f16_e64 v27, v238, v27
	v_mul_f16_e64 v31, v239, v68
	v_mul_f16_e64 v34, v239, v26
	v_mul_f16_e32 v37, v103, v73
	v_mul_f16_e32 v40, v103, v47
	v_fma_f16 v6, v6, v51, -v81
	v_fma_f16 v15, v15, v67, -v27
	v_fmac_f16_e32 v31, v75, v26
	v_fma_f16 v26, v75, v68, -v34
	v_fmac_f16_e32 v37, v76, v47
	v_fma_f16 v27, v76, v73, -v40
	v_add_f16_e32 v34, v65, v50
	v_add_f16_e32 v40, v4, v32
	v_sub_f16_e32 v47, v65, v50
	v_sub_f16_e32 v4, v4, v32
	v_add_f16_e32 v32, v78, v43
	v_add_f16_e32 v50, v5, v28
	v_sub_f16_e32 v43, v78, v43
	v_sub_f16_e32 v5, v5, v28
	;; [unrolled: 4-line block ×3, first 2 shown]
	v_add_f16_e32 v7, v32, v34
	v_add_f16_e32 v52, v50, v40
	v_lshrrev_b32_e32 v48, 16, v23
	v_sub_f16_e32 v53, v32, v34
	v_sub_f16_e32 v54, v50, v40
	;; [unrolled: 1-line block ×6, first 2 shown]
	v_add_f16_e32 v56, v22, v43
	v_add_f16_e32 v57, v6, v5
	v_sub_f16_e32 v58, v22, v43
	v_sub_f16_e32 v59, v6, v5
	;; [unrolled: 1-line block ×3, first 2 shown]
	v_add_f16_e32 v7, v28, v7
	v_add_f16_e32 v28, v51, v52
	v_sub_f16_e32 v5, v5, v4
	v_sub_f16_e32 v22, v47, v22
	;; [unrolled: 1-line block ×3, first 2 shown]
	v_add_f16_e32 v47, v56, v47
	v_add_f16_e32 v4, v57, v4
	;; [unrolled: 1-line block ×4, first 2 shown]
	v_mul_f16_e32 v34, 0x3a52, v34
	v_mul_f16_e32 v40, 0x3a52, v40
	;; [unrolled: 1-line block ×8, first 2 shown]
	v_fmamk_f16 v7, v7, 0xbcab, v23
	v_fmamk_f16 v28, v28, 0xbcab, v48
	;; [unrolled: 1-line block ×4, first 2 shown]
	v_fma_f16 v51, v53, 0x39e0, -v51
	v_fma_f16 v52, v54, 0x39e0, -v52
	;; [unrolled: 1-line block ×4, first 2 shown]
	v_fmamk_f16 v53, v22, 0xb574, v56
	v_fmamk_f16 v54, v6, 0xb574, v57
	v_fma_f16 v22, v22, 0x3574, -v58
	v_fma_f16 v6, v6, 0x3574, -v59
	v_fma_f16 v43, v43, 0xbb00, -v56
	v_fma_f16 v5, v5, 0xbb00, -v57
	v_add_f16_e32 v32, v32, v7
	v_add_f16_e32 v50, v50, v28
	v_add_f16_e32 v51, v51, v7
	v_add_f16_e32 v52, v52, v28
	v_add_f16_e32 v7, v34, v7
	v_add_f16_e32 v28, v40, v28
	v_fmac_f16_e32 v53, 0xb70e, v47
	v_fmac_f16_e32 v54, 0xb70e, v4
	;; [unrolled: 1-line block ×6, first 2 shown]
	v_add_f16_e32 v4, v54, v32
	v_sub_f16_e32 v34, v50, v53
	v_add_f16_e32 v40, v6, v7
	v_sub_f16_e32 v47, v28, v22
	v_sub_f16_e32 v6, v7, v6
	v_add_f16_e32 v7, v22, v28
	v_sub_f16_e32 v22, v32, v54
	v_add_f16_e32 v28, v53, v50
	v_add_f16_e32 v32, v35, v33
	;; [unrolled: 1-line block ×3, first 2 shown]
	v_sub_f16_e32 v33, v35, v33
	v_sub_f16_e32 v0, v0, v29
	v_add_f16_e32 v29, v41, v49
	v_add_f16_e32 v35, v1, v25
	v_sub_f16_e32 v41, v41, v49
	v_sub_f16_e32 v1, v1, v25
	v_add_f16_e32 v25, v36, v39
	v_add_f16_e32 v49, v2, v3
	;; [unrolled: 4-line block ×3, first 2 shown]
	v_lshrrev_b32_e32 v55, 16, v24
	v_sub_f16_e32 v56, v51, v5
	v_add_f16_e32 v57, v43, v52
	v_add_f16_e32 v5, v5, v51
	v_sub_f16_e32 v43, v52, v43
	v_sub_f16_e32 v51, v29, v32
	;; [unrolled: 1-line block ×7, first 2 shown]
	v_add_f16_e32 v53, v36, v41
	v_add_f16_e32 v54, v2, v1
	v_sub_f16_e32 v58, v36, v41
	v_sub_f16_e32 v59, v2, v1
	;; [unrolled: 1-line block ×3, first 2 shown]
	v_add_f16_e32 v3, v25, v3
	v_add_f16_e32 v25, v49, v39
	v_sub_f16_e32 v1, v1, v0
	v_sub_f16_e32 v36, v33, v36
	;; [unrolled: 1-line block ×3, first 2 shown]
	v_add_f16_e32 v33, v53, v33
	v_add_f16_e32 v0, v54, v0
	;; [unrolled: 1-line block ×4, first 2 shown]
	v_mul_f16_e32 v32, 0x3a52, v32
	v_mul_f16_e32 v49, 0x3a52, v50
	;; [unrolled: 1-line block ×8, first 2 shown]
	v_fmamk_f16 v3, v3, 0xbcab, v24
	v_fmamk_f16 v25, v25, 0xbcab, v39
	;; [unrolled: 1-line block ×4, first 2 shown]
	v_fma_f16 v50, v51, 0x39e0, -v50
	v_fma_f16 v53, v52, 0x39e0, -v53
	;; [unrolled: 1-line block ×4, first 2 shown]
	v_fmamk_f16 v51, v36, 0xb574, v54
	v_fmamk_f16 v52, v2, 0xb574, v55
	v_fma_f16 v36, v36, 0x3574, -v58
	v_fma_f16 v2, v2, 0x3574, -v59
	v_fma_f16 v41, v41, 0xbb00, -v54
	v_fma_f16 v1, v1, 0xbb00, -v55
	v_add_f16_e32 v29, v29, v3
	v_add_f16_e32 v35, v35, v25
	;; [unrolled: 1-line block ×6, first 2 shown]
	v_fmac_f16_e32 v51, 0xb70e, v33
	v_fmac_f16_e32 v52, 0xb70e, v0
	;; [unrolled: 1-line block ×6, first 2 shown]
	v_add_f16_e32 v0, v52, v29
	v_sub_f16_e32 v32, v35, v51
	v_add_f16_e32 v33, v2, v3
	v_sub_f16_e32 v49, v25, v36
	v_sub_f16_e32 v2, v3, v2
	v_add_f16_e32 v3, v36, v25
	v_sub_f16_e32 v25, v29, v52
	v_add_f16_e32 v29, v51, v35
	v_add_f16_e32 v35, v42, v37
	;; [unrolled: 1-line block ×3, first 2 shown]
	v_sub_f16_e32 v37, v42, v37
	v_sub_f16_e32 v12, v12, v27
	v_add_f16_e32 v27, v30, v31
	v_add_f16_e32 v42, v13, v26
	v_sub_f16_e32 v30, v30, v31
	v_sub_f16_e32 v13, v13, v26
	v_add_f16_e32 v26, v38, v44
	v_add_f16_e32 v31, v14, v15
	;; [unrolled: 4-line block ×3, first 2 shown]
	v_lshrrev_b32_e32 v62, 16, v21
	v_sub_f16_e32 v54, v50, v1
	v_add_f16_e32 v55, v41, v53
	v_add_f16_e32 v1, v1, v50
	v_sub_f16_e32 v41, v53, v41
	v_sub_f16_e32 v50, v27, v35
	;; [unrolled: 1-line block ×7, first 2 shown]
	v_add_f16_e32 v52, v38, v30
	v_add_f16_e32 v53, v14, v13
	v_sub_f16_e32 v58, v38, v30
	v_sub_f16_e32 v59, v14, v13
	;; [unrolled: 1-line block ×3, first 2 shown]
	v_add_f16_e32 v15, v26, v15
	v_add_f16_e32 v26, v31, v44
	v_sub_f16_e32 v13, v13, v12
	v_sub_f16_e32 v38, v37, v38
	;; [unrolled: 1-line block ×3, first 2 shown]
	v_add_f16_e32 v31, v52, v37
	v_add_f16_e32 v12, v53, v12
	;; [unrolled: 1-line block ×4, first 2 shown]
	v_mul_f16_e32 v35, 0x3a52, v35
	v_mul_f16_e32 v36, 0x3a52, v36
	;; [unrolled: 1-line block ×8, first 2 shown]
	v_fmamk_f16 v15, v15, 0xbcab, v21
	v_fmamk_f16 v26, v26, 0xbcab, v37
	v_fmamk_f16 v27, v27, 0x2b26, v35
	v_fmamk_f16 v42, v42, 0x2b26, v36
	v_fma_f16 v44, v50, 0x39e0, -v44
	v_fma_f16 v52, v51, 0x39e0, -v52
	;; [unrolled: 1-line block ×4, first 2 shown]
	v_fmamk_f16 v50, v38, 0xb574, v53
	v_fmamk_f16 v51, v14, 0xb574, v58
	v_fma_f16 v38, v38, 0x3574, -v59
	v_fma_f16 v14, v14, 0x3574, -v60
	;; [unrolled: 1-line block ×4, first 2 shown]
	v_add_f16_e32 v27, v27, v15
	v_add_f16_e32 v42, v42, v26
	v_add_f16_e32 v44, v44, v15
	v_add_f16_e32 v52, v52, v26
	v_add_f16_e32 v15, v35, v15
	v_add_f16_e32 v26, v36, v26
	v_fmac_f16_e32 v14, 0xb70e, v12
	v_fmac_f16_e32 v38, 0xb70e, v31
	;; [unrolled: 1-line block ×4, first 2 shown]
	v_pack_b32_f16 v4, v4, v34
	v_fmac_f16_e32 v30, 0xb70e, v31
	v_fmac_f16_e32 v13, 0xb70e, v12
	v_pack_b32_f16 v34, v40, v47
	v_add_f16_e32 v35, v14, v15
	v_sub_f16_e32 v36, v26, v38
	v_sub_f16_e32 v14, v15, v14
	v_add_f16_e32 v15, v38, v26
	v_pack_b32_f16 v38, v56, v57
	v_pack_b32_f16 v5, v5, v43
	;; [unrolled: 1-line block ×3, first 2 shown]
	v_add_f16_e32 v12, v51, v27
	v_sub_f16_e32 v31, v42, v50
	v_pack_b32_f16 v23, v23, v48
	v_pack_b32_f16 v7, v22, v28
	;; [unrolled: 1-line block ×3, first 2 shown]
	ds_store_b32 v93, v4 offset:864
	ds_store_b32 v93, v34 offset:1728
	;; [unrolled: 1-line block ×6, first 2 shown]
	ds_store_2addr_b32 v93, v23, v22 offset1:63
	v_pack_b32_f16 v5, v54, v55
	v_sub_f16_e32 v53, v44, v13
	v_add_f16_e32 v58, v30, v52
	v_pack_b32_f16 v1, v1, v41
	v_add_f16_e32 v13, v13, v44
	v_sub_f16_e32 v30, v52, v30
	v_pack_b32_f16 v2, v2, v3
	v_pack_b32_f16 v3, v25, v29
	v_sub_f16_e32 v26, v27, v51
	v_add_f16_e32 v27, v50, v42
	v_pack_b32_f16 v0, v0, v32
	v_pack_b32_f16 v4, v33, v49
	;; [unrolled: 1-line block ×4, first 2 shown]
	ds_store_b32 v93, v5 offset:2844
	ds_store_b32 v93, v1 offset:3708
	;; [unrolled: 1-line block ×6, first 2 shown]
	ds_store_2addr_b32 v77, v0, v7 offset0:23 offset1:86
	v_pack_b32_f16 v0, v35, v36
	v_pack_b32_f16 v1, v53, v58
	;; [unrolled: 1-line block ×5, first 2 shown]
	ds_store_b32 v93, v0 offset:2232
	ds_store_b32 v93, v1 offset:3096
	;; [unrolled: 1-line block ×5, first 2 shown]
	s_and_saveexec_b32 s0, vcc_lo
	s_cbranch_execz .LBB0_9
; %bb.8:
	v_lshrrev_b32_e32 v22, 16, v9
	v_lshrrev_b32_e32 v15, 16, v8
	;; [unrolled: 1-line block ×5, first 2 shown]
	v_mul_f16_e32 v3, v22, v45
	v_mul_f16_e32 v0, v15, v46
	v_lshrrev_b32_e32 v23, 16, v10
	v_mul_f16_e64 v4, v21, v230
	v_mul_f16_e64 v5, v12, v237
	v_fmac_f16_e32 v3, v9, v18
	v_mul_f16_e64 v12, v12, v235
	v_mul_f16_e32 v15, v15, v20
	v_mul_f16_e32 v21, v21, v72
	;; [unrolled: 1-line block ×4, first 2 shown]
	v_mul_f16_e64 v2, v23, v154
	v_fmac_f16_e32 v0, v8, v20
	v_fma_f16 v12, v70, v237, -v12
	v_fma_f16 v8, v8, v46, -v15
	v_mul_f16_e32 v15, v23, v74
	v_mul_f16_e32 v22, v24, v71
	v_fma_f16 v21, v69, v230, -v21
	v_fma_f16 v9, v9, v45, -v18
	v_fmac_f16_e32 v1, v11, v71
	v_fmac_f16_e32 v2, v10, v74
	v_add_f16_e32 v18, v12, v8
	v_fma_f16 v10, v10, v154, -v15
	v_fma_f16 v11, v11, v86, -v22
	v_add_f16_e32 v15, v21, v9
	v_fmac_f16_e32 v4, v69, v72
	v_fmac_f16_e64 v5, v70, v235
	v_sub_f16_e32 v6, v1, v2
	v_add_f16_e32 v23, v10, v11
	v_add_f16_e32 v24, v15, v18
	v_sub_f16_e32 v7, v3, v4
	v_sub_f16_e32 v13, v0, v5
	v_add_f16_e32 v0, v5, v0
	v_add_f16_e32 v3, v4, v3
	v_add_f16_e32 v24, v23, v24
	v_sub_f16_e32 v25, v18, v23
	v_add_f16_e32 v1, v2, v1
	v_sub_f16_e32 v10, v11, v10
	v_sub_f16_e32 v9, v9, v21
	v_add_f16_e32 v2, v17, v24
	v_add_f16_e32 v17, v3, v0
	v_mul_f16_e32 v5, 0x3a52, v25
	v_sub_f16_e32 v25, v0, v1
	v_sub_f16_e32 v8, v8, v12
	;; [unrolled: 1-line block ×3, first 2 shown]
	v_add_f16_e32 v17, v1, v17
	v_sub_f16_e32 v4, v23, v15
	v_mul_f16_e32 v11, 0x3a52, v25
	v_sub_f16_e32 v1, v1, v3
	v_sub_f16_e32 v12, v10, v9
	v_add_f16_e32 v19, v19, v17
	v_sub_f16_e32 v20, v13, v6
	v_add_f16_e32 v6, v6, v7
	v_sub_f16_e32 v25, v8, v10
	v_sub_f16_e32 v7, v7, v13
	v_add_f16_e32 v10, v10, v9
	v_sub_f16_e32 v0, v3, v0
	v_sub_f16_e32 v3, v9, v8
	v_mul_f16_e32 v14, 0x3846, v14
	v_mul_f16_e32 v23, 0x2b26, v4
	v_fmamk_f16 v21, v1, 0x2b26, v11
	v_fmamk_f16 v17, v17, 0xbcab, v19
	v_mul_f16_e32 v12, 0x3846, v12
	v_sub_f16_e32 v15, v15, v18
	v_mul_f16_e32 v1, 0x2b26, v1
	v_mul_f16_e32 v27, 0xbb00, v7
	v_add_f16_e32 v8, v10, v8
	v_fma_f16 v10, v0, 0xb9e0, -v11
	v_mul_f16_e32 v11, 0xbb00, v3
	v_fmamk_f16 v22, v20, 0xb574, v14
	v_add_f16_e32 v6, v6, v13
	v_fmamk_f16 v4, v4, 0x2b26, v5
	v_fmamk_f16 v24, v24, 0xbcab, v2
	v_add_f16_e32 v13, v21, v17
	v_fmamk_f16 v21, v25, 0xb574, v12
	v_fma_f16 v5, v15, 0xb9e0, -v5
	v_fma_f16 v15, v15, 0x39e0, -v23
	v_fma_f16 v7, v7, 0xbb00, -v14
	v_fma_f16 v9, v20, 0x3574, -v27
	v_fma_f16 v11, v25, 0x3574, -v11
	v_fma_f16 v3, v3, 0xbb00, -v12
	v_fma_f16 v0, v0, 0x39e0, -v1
	v_fmac_f16_e32 v22, 0xb70e, v6
	v_add_f16_e32 v4, v4, v24
	v_fmac_f16_e32 v21, 0xb70e, v8
	v_add_f16_e32 v1, v15, v24
	v_fmac_f16_e32 v7, 0xb70e, v6
	v_fmac_f16_e32 v9, 0xb70e, v6
	v_add_f16_e32 v5, v5, v24
	v_add_f16_e32 v10, v10, v17
	v_fmac_f16_e32 v11, 0xb70e, v8
	v_fmac_f16_e32 v3, 0xb70e, v8
	v_add_f16_e32 v0, v0, v17
	v_add_f16_e32 v26, v22, v4
	v_sub_f16_e32 v14, v1, v7
	v_add_f16_e32 v1, v7, v1
	v_sub_f16_e32 v4, v4, v22
	v_add_f16_e32 v7, v21, v13
	v_add_f16_e32 v8, v9, v5
	;; [unrolled: 1-line block ×3, first 2 shown]
	v_sub_f16_e32 v5, v5, v9
	v_add_f16_e32 v9, v11, v10
	v_sub_f16_e32 v0, v0, v3
	v_sub_f16_e32 v12, v10, v11
	;; [unrolled: 1-line block ×3, first 2 shown]
	v_pack_b32_f16 v2, v19, v2
	v_pack_b32_f16 v3, v7, v4
	v_add_nc_u32_e32 v4, 0x280, v93
	v_pack_b32_f16 v5, v9, v5
	v_pack_b32_f16 v0, v0, v1
	v_add_nc_u32_e32 v1, 0x980, v93
	;; [unrolled: 3-line block ×3, first 2 shown]
	v_pack_b32_f16 v6, v6, v26
	ds_store_2addr_b32 v4, v2, v3 offset0:29 offset1:245
	ds_store_2addr_b32 v1, v5, v0 offset0:13 offset1:229
	ds_store_2addr_b32 v9, v7, v8 offset0:29 offset1:245
	ds_store_b32 v93, v6 offset:5940
.LBB0_9:
	s_wait_alu 0xfffe
	s_or_b32 exec_lo, exec_lo, s0
	global_wb scope:SCOPE_SE
	s_wait_dscnt 0x0
	s_barrier_signal -1
	s_barrier_wait -1
	global_inv scope:SCOPE_SE
	ds_load_2addr_b32 v[0:1], v93 offset1:63
	v_mad_co_u64_u32 v[17:18], null, s4, v128, 0
	v_add_nc_u32_e32 v2, 0xa00, v93
	v_lshrrev_b32_e32 v6, 16, v137
	v_lshrrev_b32_e32 v10, 16, v134
	;; [unrolled: 1-line block ×3, first 2 shown]
	s_mov_b32 s8, 0x6b015ac0
	ds_load_2addr_b32 v[2:3], v2 offset0:116 offset1:179
	s_mov_b32 s9, 0x3f45ac05
	v_lshrrev_b32_e32 v41, 16, v131
	s_wait_dscnt 0x1
	v_lshrrev_b32_e32 v4, 16, v0
	v_mul_f16_e32 v5, v6, v0
	v_lshrrev_b32_e32 v12, 16, v1
	s_delay_alu instid0(VALU_DEP_3) | instskip(NEXT) | instid1(VALU_DEP_3)
	v_mul_f16_e32 v6, v6, v4
	v_fma_f16 v4, v137, v4, -v5
	s_wait_dscnt 0x0
	v_lshrrev_b32_e32 v8, 16, v2
	v_mul_f16_e32 v7, v10, v2
	v_fmac_f16_e64 v6, v137, v0
	v_cvt_f32_f16_e32 v0, v4
	s_delay_alu instid0(VALU_DEP_4) | instskip(NEXT) | instid1(VALU_DEP_4)
	v_mul_f16_e32 v13, v10, v8
	v_fma_f16 v9, v134, v8, -v7
	s_delay_alu instid0(VALU_DEP_4) | instskip(NEXT) | instid1(VALU_DEP_4)
	v_cvt_f32_f16_e32 v6, v6
	v_cvt_f64_f32_e32 v[4:5], v0
	v_mul_f16_e32 v0, v14, v12
	v_fmac_f16_e64 v13, v134, v2
	v_cvt_f32_f16_e32 v9, v9
	v_cvt_f64_f32_e32 v[6:7], v6
	v_mul_f16_e32 v2, v14, v1
	v_fmac_f16_e64 v0, v135, v1
	v_mad_co_u64_u32 v[14:15], null, s6, v16, 0
	v_cvt_f64_f32_e32 v[8:9], v9
	s_delay_alu instid0(VALU_DEP_4) | instskip(NEXT) | instid1(VALU_DEP_4)
	v_fma_f16 v2, v135, v12, -v2
	v_cvt_f32_f16_e32 v0, v0
	s_delay_alu instid0(VALU_DEP_2) | instskip(NEXT) | instid1(VALU_DEP_2)
	v_cvt_f32_f16_e32 v2, v2
	v_cvt_f64_f32_e32 v[10:11], v0
	v_cvt_f32_f16_e32 v0, v13
	s_delay_alu instid0(VALU_DEP_3) | instskip(SKIP_1) | instid1(VALU_DEP_3)
	v_cvt_f64_f32_e32 v[12:13], v2
	v_mov_b32_e32 v2, v15
	v_cvt_f64_f32_e32 v[0:1], v0
	v_mov_b32_e32 v15, v18
	s_delay_alu instid0(VALU_DEP_3) | instskip(NEXT) | instid1(VALU_DEP_2)
	v_mad_co_u64_u32 v[18:19], null, s7, v16, v[2:3]
	v_mad_co_u64_u32 v[19:20], null, s5, v128, v[15:16]
	v_lshrrev_b32_e32 v2, 16, v3
	s_movk_i32 s6, 0xf52c
	s_mov_b32 s7, -1
	s_delay_alu instid0(VALU_DEP_3) | instskip(NEXT) | instid1(VALU_DEP_2)
	v_mov_b32_e32 v15, v18
	v_mul_f16_e32 v16, v41, v2
	s_wait_alu 0xfffe
	v_mul_f64_e32 v[4:5], s[8:9], v[4:5]
	s_delay_alu instid0(VALU_DEP_3) | instskip(NEXT) | instid1(VALU_DEP_3)
	v_lshlrev_b64_e32 v[14:15], 2, v[14:15]
	v_fmac_f16_e64 v16, v131, v3
	v_mul_f16_e32 v3, v41, v3
	v_mul_f64_e32 v[6:7], s[8:9], v[6:7]
	s_delay_alu instid0(VALU_DEP_3) | instskip(NEXT) | instid1(VALU_DEP_3)
	v_cvt_f32_f16_e32 v16, v16
	v_fma_f16 v2, v131, v2, -v3
	v_mul_f64_e32 v[8:9], s[8:9], v[8:9]
	s_delay_alu instid0(VALU_DEP_2)
	v_cvt_f32_f16_e32 v2, v2
	v_mul_f64_e32 v[10:11], s[8:9], v[10:11]
	v_mul_f64_e32 v[12:13], s[8:9], v[12:13]
	;; [unrolled: 1-line block ×3, first 2 shown]
	v_and_or_b32 v4, 0x1ff, v5, v4
	v_bfe_u32 v21, v5, 20, 11
	v_mov_b32_e32 v18, v19
	v_add_co_u32 v19, vcc_lo, s2, v14
	s_wait_alu 0xfffd
	v_add_co_ci_u32_e32 v20, vcc_lo, s3, v15, vcc_lo
	v_and_or_b32 v6, 0x1ff, v7, v6
	v_cmp_ne_u32_e32 vcc_lo, 0, v4
	v_and_or_b32 v8, 0x1ff, v9, v8
	v_cvt_f64_f32_e32 v[14:15], v16
	v_lshrrev_b32_e32 v16, 8, v5
	v_bfe_u32 v23, v7, 20, 11
	s_wait_alu 0xfffd
	v_cndmask_b32_e64 v4, 0, 1, vcc_lo
	v_cmp_ne_u32_e32 vcc_lo, 0, v6
	v_lshrrev_b32_e32 v22, 8, v7
	v_and_or_b32 v10, 0x1ff, v11, v10
	v_sub_nc_u32_e32 v24, 0x3f1, v21
	v_add_nc_u32_e32 v21, 0xfffffc10, v21
	s_wait_alu 0xfffd
	v_cndmask_b32_e64 v6, 0, 1, vcc_lo
	v_cmp_ne_u32_e32 vcc_lo, 0, v8
	v_and_or_b32 v4, 0xffe, v16, v4
	v_sub_nc_u32_e32 v29, 0x3f1, v23
	v_and_or_b32 v0, 0x1ff, v1, v0
	v_bfe_u32 v26, v9, 20, 11
	s_wait_alu 0xfffd
	v_cndmask_b32_e64 v8, 0, 1, vcc_lo
	v_cmp_ne_u32_e32 vcc_lo, 0, v10
	v_and_or_b32 v6, 0xffe, v22, v6
	v_med3_i32 v22, v29, 0, 13
	v_or_b32_e32 v29, 0x1000, v4
	v_lshl_or_b32 v32, v21, 12, v4
	s_wait_alu 0xfffd
	v_cndmask_b32_e64 v10, 0, 1, vcc_lo
	v_cmp_ne_u32_e32 vcc_lo, 0, v4
	v_lshrrev_b32_e32 v25, 8, v9
	v_med3_i32 v16, v24, 0, 13
	v_lshrrev_b32_e32 v24, 8, v1
	v_sub_nc_u32_e32 v31, 0x3f1, v26
	s_wait_alu 0xfffd
	v_cndmask_b32_e64 v4, 0, 1, vcc_lo
	v_cmp_ne_u32_e32 vcc_lo, 0, v0
	v_add_nc_u32_e32 v23, 0xfffffc10, v23
	v_bfe_u32 v30, v1, 20, 11
	v_and_or_b32 v8, 0xffe, v25, v8
	v_med3_i32 v25, v31, 0, 13
	s_wait_alu 0xfffd
	v_cndmask_b32_e64 v0, 0, 1, vcc_lo
	v_or_b32_e32 v31, 0x1000, v6
	v_cmp_ne_u32_e32 vcc_lo, 0, v6
	v_lshrrev_b32_e32 v35, v16, v29
	v_sub_nc_u32_e32 v33, 0x3f1, v30
	v_and_or_b32 v0, 0xffe, v24, v0
	v_add_nc_u32_e32 v30, 0xfffffc10, v30
	v_lshl_or_b32 v34, v23, 12, v6
	s_wait_alu 0xfffd
	v_cndmask_b32_e64 v6, 0, 1, vcc_lo
	v_lshrrev_b32_e32 v37, v22, v31
	v_lshlrev_b32_e32 v16, v16, v35
	v_cmp_ne_u32_e32 vcc_lo, 0, v0
	v_or_b32_e32 v38, 0x1000, v0
	v_lshl_or_b32 v39, v30, 12, v0
	v_lshlrev_b32_e32 v22, v22, v37
	v_med3_i32 v24, v33, 0, 13
	s_wait_alu 0xfffd
	v_cndmask_b32_e64 v0, 0, 1, vcc_lo
	v_cmp_ne_u32_e32 vcc_lo, v16, v29
	v_or_b32_e32 v33, 0x1000, v8
	v_cmp_gt_i32_e64 s3, 1, v30
	v_lshrrev_b32_e32 v29, v24, v38
	v_lshl_or_b32 v6, v6, 9, 0x7c00
	s_wait_alu 0xfffd
	v_cndmask_b32_e64 v16, 0, 1, vcc_lo
	v_cmp_ne_u32_e32 vcc_lo, v22, v31
	v_lshrrev_b32_e32 v40, v25, v33
	v_lshlrev_b32_e32 v24, v24, v29
	v_lshl_or_b32 v4, v4, 9, 0x7c00
	v_or_b32_e32 v16, v35, v16
	s_wait_alu 0xfffd
	v_cndmask_b32_e64 v22, 0, 1, vcc_lo
	v_lshrrev_b32_e32 v5, 16, v5
	v_lshrrev_b32_e32 v7, 16, v7
	v_lshl_or_b32 v0, v0, 9, 0x7c00
	v_lshrrev_b32_e32 v27, 8, v11
	v_or_b32_e32 v22, v37, v22
	v_lshlrev_b32_e32 v25, v25, v40
	v_bfe_u32 v28, v11, 20, 11
	v_lshrrev_b32_e32 v9, 16, v9
	v_and_or_b32 v10, 0xffe, v27, v10
	v_and_or_b32 v12, 0x1ff, v13, v12
	v_cmp_ne_u32_e32 vcc_lo, v25, v33
	v_lshrrev_b32_e32 v11, 16, v11
	s_wait_alu 0xfffd
	v_cndmask_b32_e64 v25, 0, 1, vcc_lo
	v_cmp_gt_i32_e32 vcc_lo, 1, v21
	s_delay_alu instid0(VALU_DEP_2)
	v_or_b32_e32 v25, v40, v25
	s_wait_alu 0xfffd
	v_cndmask_b32_e32 v16, v32, v16, vcc_lo
	v_cmp_ne_u32_e32 vcc_lo, v24, v38
	v_add_nc_u32_e32 v26, 0xfffffc10, v26
	s_wait_alu 0xfffd
	v_cndmask_b32_e64 v24, 0, 1, vcc_lo
	v_cmp_gt_i32_e32 vcc_lo, 1, v23
	s_delay_alu instid0(VALU_DEP_3) | instskip(NEXT) | instid1(VALU_DEP_3)
	v_lshl_or_b32 v36, v26, 12, v8
	v_or_b32_e32 v24, v29, v24
	s_wait_alu 0xfffd
	v_cndmask_b32_e32 v22, v34, v22, vcc_lo
	v_cmp_gt_i32_e32 vcc_lo, 1, v26
	s_wait_alu 0xf1ff
	v_cndmask_b32_e64 v24, v39, v24, s3
	s_delay_alu instid0(VALU_DEP_3) | instskip(SKIP_3) | instid1(VALU_DEP_3)
	v_and_b32_e32 v29, 7, v22
	v_lshrrev_b32_e32 v22, 2, v22
	s_wait_alu 0xfffd
	v_cndmask_b32_e32 v25, v36, v25, vcc_lo
	v_cmp_lt_i32_e64 s0, 5, v29
	v_cmp_eq_u32_e64 s1, 3, v29
	s_delay_alu instid0(VALU_DEP_3) | instskip(NEXT) | instid1(VALU_DEP_2)
	v_and_b32_e32 v29, 7, v25
	s_or_b32 s0, s1, s0
	v_cmp_eq_u32_e64 s1, 0x40f, v23
	s_wait_alu 0xfffe
	v_add_co_ci_u32_e64 v22, s0, 0, v22, s0
	v_and_b32_e32 v31, 7, v16
	v_lshrrev_b32_e32 v16, 2, v16
	s_delay_alu instid0(VALU_DEP_2) | instskip(SKIP_3) | instid1(VALU_DEP_3)
	v_cmp_lt_i32_e32 vcc_lo, 5, v31
	v_cmp_eq_u32_e64 s2, 3, v31
	v_and_b32_e32 v31, 7, v24
	v_lshrrev_b32_e32 v24, 2, v24
	s_or_b32 vcc_lo, s2, vcc_lo
	s_delay_alu instid0(VALU_DEP_2)
	v_cmp_eq_u32_e64 s0, 3, v31
	s_wait_alu 0xfffe
	v_add_co_ci_u32_e32 v16, vcc_lo, 0, v16, vcc_lo
	v_cmp_gt_i32_e32 vcc_lo, 31, v23
	s_mul_u64 s[2:3], s[4:5], 0xbd0
	s_mul_u64 s[4:5], s[4:5], s[6:7]
	s_wait_alu 0xfffd
	v_cndmask_b32_e32 v22, 0x7c00, v22, vcc_lo
	v_cmp_gt_i32_e32 vcc_lo, 31, v21
	s_delay_alu instid0(VALU_DEP_2)
	v_cndmask_b32_e64 v6, v22, v6, s1
	s_wait_alu 0xfffd
	v_cndmask_b32_e32 v16, 0x7c00, v16, vcc_lo
	v_cmp_lt_i32_e32 vcc_lo, 5, v31
	v_cmp_eq_u32_e64 s1, 0x40f, v21
	v_and_or_b32 v6, 0x8000, v7, v6
	v_lshrrev_b32_e32 v7, 2, v25
	s_or_b32 vcc_lo, s0, vcc_lo
	s_delay_alu instid0(VALU_DEP_3)
	v_cndmask_b32_e64 v4, v16, v4, s1
	s_wait_alu 0xfffe
	v_add_co_ci_u32_e32 v16, vcc_lo, 0, v24, vcc_lo
	v_cmp_gt_i32_e64 s0, 31, v30
	v_cmp_lt_i32_e32 vcc_lo, 5, v29
	v_and_or_b32 v4, 0x8000, v5, v4
	v_cmp_eq_u32_e64 s1, 0x40f, v30
	v_and_b32_e32 v6, 0xffff, v6
	s_wait_alu 0xf1ff
	v_cndmask_b32_e64 v5, 0x7c00, v16, s0
	v_cmp_eq_u32_e64 s0, 3, v29
	s_delay_alu instid0(VALU_DEP_3) | instskip(NEXT) | instid1(VALU_DEP_3)
	v_lshl_or_b32 v16, v4, 16, v6
	v_cndmask_b32_e64 v5, v5, v0, s1
	s_delay_alu instid0(VALU_DEP_3)
	s_or_b32 vcc_lo, s0, vcc_lo
	v_sub_nc_u32_e32 v6, 0x3f1, v28
	s_wait_alu 0xfffe
	v_add_co_ci_u32_e32 v0, vcc_lo, 0, v7, vcc_lo
	v_cmp_ne_u32_e32 vcc_lo, 0, v8
	v_or_b32_e32 v8, 0x1000, v10
	v_med3_i32 v6, v6, 0, 13
	v_lshrrev_b32_e32 v7, 16, v1
	s_wait_alu 0xfffd
	v_cndmask_b32_e64 v4, 0, 1, vcc_lo
	v_cmp_gt_i32_e32 vcc_lo, 31, v26
	s_delay_alu instid0(VALU_DEP_3) | instskip(NEXT) | instid1(VALU_DEP_3)
	v_and_or_b32 v7, 0x8000, v7, v5
	v_lshl_or_b32 v4, v4, 9, 0x7c00
	s_wait_alu 0xfffd
	v_cndmask_b32_e32 v0, 0x7c00, v0, vcc_lo
	v_cmp_eq_u32_e32 vcc_lo, 0x40f, v26
	v_lshrrev_b32_e32 v26, 16, v129
	s_wait_alu 0xfffd
	s_delay_alu instid0(VALU_DEP_3)
	v_cndmask_b32_e32 v4, v0, v4, vcc_lo
	v_lshlrev_b64_e32 v[0:1], 2, v[17:18]
	v_lshrrev_b32_e32 v17, v6, v8
	v_cmp_ne_u32_e32 vcc_lo, 0, v12
	v_bfe_u32 v12, v13, 20, 11
	v_and_or_b32 v9, 0x8000, v9, v4
	v_add_nc_u32_e32 v18, 0xfffffc10, v28
	v_lshlrev_b32_e32 v4, v6, v17
	s_wait_alu 0xfffd
	v_cndmask_b32_e64 v5, 0, 1, vcc_lo
	v_lshrrev_b32_e32 v6, 8, v13
	v_lshrrev_b32_e32 v28, 16, v116
	v_cmp_ne_u32_e32 vcc_lo, v4, v8
	v_sub_nc_u32_e32 v8, 0x3f1, v12
	s_delay_alu instid0(VALU_DEP_4)
	v_and_or_b32 v21, 0xffe, v6, v5
	v_mul_f64_e32 v[4:5], s[8:9], v[14:15]
	v_and_b32_e32 v14, 0xffff, v7
	s_wait_alu 0xfffd
	v_cndmask_b32_e64 v3, 0, 1, vcc_lo
	v_cmp_gt_i32_e32 vcc_lo, 1, v18
	v_or_b32_e32 v22, 0x1000, v21
	v_med3_i32 v8, v8, 0, 13
	v_add_nc_u32_e32 v12, 0xfffffc10, v12
	v_or_b32_e32 v6, v17, v3
	v_cvt_f64_f32_e32 v[2:3], v2
	v_lshl_or_b32 v17, v18, 12, v10
	s_wait_alu 0xfffd
	s_delay_alu instid0(VALU_DEP_1)
	v_cndmask_b32_e32 v15, v17, v6, vcc_lo
	ds_load_2addr_b32 v[6:7], v93 offset0:126 offset1:189
	v_lshrrev_b32_e32 v17, v8, v22
	v_add_co_u32 v0, vcc_lo, v19, v0
	s_wait_alu 0xfffd
	v_add_co_ci_u32_e32 v1, vcc_lo, v20, v1, vcc_lo
	v_lshl_or_b32 v19, v9, 16, v14
	v_and_b32_e32 v14, 7, v15
	v_lshlrev_b32_e32 v20, v8, v17
	v_add_co_u32 v8, vcc_lo, v0, s2
	s_wait_alu 0xfffd
	v_add_co_ci_u32_e32 v9, vcc_lo, s3, v1, vcc_lo
	v_cmp_lt_i32_e32 vcc_lo, 5, v14
	v_cmp_eq_u32_e64 s0, 3, v14
	v_lshrrev_b32_e32 v14, 2, v15
	v_cmp_ne_u32_e64 s1, v20, v22
	global_store_b32 v[0:1], v16, off
	v_add_nc_u32_e32 v1, 0xc00, v93
	s_or_b32 vcc_lo, s0, vcc_lo
	s_wait_dscnt 0x0
	v_lshrrev_b32_e32 v20, 16, v6
	s_wait_alu 0xfffe
	v_add_co_ci_u32_e32 v14, vcc_lo, 0, v14, vcc_lo
	v_cndmask_b32_e64 v15, 0, 1, s1
	v_cmp_gt_i32_e32 vcc_lo, 31, v18
	v_mul_f16_e32 v22, v26, v20
	v_and_or_b32 v4, 0x1ff, v5, v4
	v_lshrrev_b32_e32 v24, 8, v5
	v_or_b32_e32 v15, v17, v15
	v_lshl_or_b32 v17, v12, 12, v21
	s_wait_alu 0xfffd
	v_cndmask_b32_e32 v23, 0x7c00, v14, vcc_lo
	v_cmp_gt_i32_e32 vcc_lo, 1, v12
	v_mul_f64_e32 v[2:3], s[8:9], v[2:3]
	v_fmac_f16_e64 v22, v129, v6
	v_bfe_u32 v25, v5, 20, 11
	v_cmp_eq_u32_e64 s1, 0x40f, v18
	s_wait_alu 0xfffd
	v_cndmask_b32_e32 v17, v17, v15, vcc_lo
	v_cmp_ne_u32_e32 vcc_lo, 0, v10
	v_cvt_f32_f16_e32 v14, v22
	v_mul_f16_e32 v6, v26, v6
	global_store_b32 v[8:9], v19, off
	v_and_b32_e32 v22, 7, v17
	s_wait_alu 0xfffd
	v_cndmask_b32_e64 v10, 0, 1, vcc_lo
	v_cmp_ne_u32_e32 vcc_lo, 0, v4
	v_cvt_f64_f32_e32 v[14:15], v14
	v_lshrrev_b32_e32 v17, 2, v17
	v_cmp_eq_u32_e64 s0, 3, v22
	v_lshl_or_b32 v10, v10, 9, 0x7c00
	s_wait_alu 0xfffd
	v_cndmask_b32_e64 v4, 0, 1, vcc_lo
	v_cmp_lt_i32_e32 vcc_lo, 5, v22
	v_sub_nc_u32_e32 v22, 0x3f1, v25
	v_fma_f16 v6, v129, v20, -v6
	s_wait_alu 0xf1ff
	v_cndmask_b32_e64 v10, v23, v10, s1
	v_and_or_b32 v4, 0xffe, v24, v4
	s_or_b32 vcc_lo, s0, vcc_lo
	v_med3_i32 v22, v22, 0, 13
	s_wait_alu 0xfffe
	v_add_co_ci_u32_e32 v17, vcc_lo, 0, v17, vcc_lo
	v_or_b32_e32 v18, 0x1000, v4
	v_cmp_ne_u32_e32 vcc_lo, 0, v21
	v_and_or_b32 v24, 0x8000, v11, v10
	v_add_nc_u32_e32 v20, 0xfffffc10, v25
	v_cvt_f32_f16_e32 v6, v6
	v_lshrrev_b32_e32 v23, v22, v18
	s_wait_alu 0xfffd
	v_cndmask_b32_e64 v21, 0, 1, vcc_lo
	v_cmp_gt_i32_e32 vcc_lo, 31, v12
	v_cmp_eq_u32_e64 s1, 0x40f, v20
	v_lshlrev_b32_e32 v10, v22, v23
	s_delay_alu instid0(VALU_DEP_4)
	v_lshl_or_b32 v21, v21, 9, 0x7c00
	s_wait_alu 0xfffd
	v_cndmask_b32_e32 v17, 0x7c00, v17, vcc_lo
	v_cmp_eq_u32_e32 vcc_lo, 0x40f, v12
	v_and_or_b32 v2, 0x1ff, v3, v2
	v_lshrrev_b32_e32 v22, 8, v3
	v_bfe_u32 v25, v3, 20, 11
	v_lshrrev_b32_e32 v3, 16, v3
	s_wait_alu 0xfffd
	v_cndmask_b32_e32 v17, v17, v21, vcc_lo
	v_cmp_ne_u32_e32 vcc_lo, v10, v18
	v_lshrrev_b32_e32 v21, 16, v13
	v_cvt_f64_f32_e32 v[12:13], v6
	s_wait_alu 0xfffd
	v_cndmask_b32_e64 v18, 0, 1, vcc_lo
	v_cmp_ne_u32_e32 vcc_lo, 0, v2
	v_mul_f64_e32 v[10:11], s[8:9], v[14:15]
	v_lshl_or_b32 v14, v20, 12, v4
	v_and_or_b32 v15, 0x8000, v21, v17
	v_or_b32_e32 v6, v23, v18
	s_wait_alu 0xfffd
	v_cndmask_b32_e64 v2, 0, 1, vcc_lo
	v_cmp_gt_i32_e32 vcc_lo, 1, v20
	v_sub_nc_u32_e32 v17, 0x3f1, v25
	s_delay_alu instid0(VALU_DEP_3)
	v_and_or_b32 v2, 0xffe, v22, v2
	s_wait_alu 0xfffd
	v_cndmask_b32_e32 v6, v14, v6, vcc_lo
	v_and_b32_e32 v14, 0xffff, v24
	v_med3_i32 v17, v17, 0, 13
	v_lshrrev_b32_e32 v24, 16, v126
	v_or_b32_e32 v18, 0x1000, v2
	v_and_b32_e32 v0, 7, v6
	v_lshl_or_b32 v16, v15, 16, v14
	v_lshrrev_b32_e32 v6, 2, v6
	s_delay_alu instid0(VALU_DEP_4) | instskip(NEXT) | instid1(VALU_DEP_4)
	v_lshrrev_b32_e32 v14, v17, v18
	v_cmp_lt_i32_e32 vcc_lo, 5, v0
	v_cmp_eq_u32_e64 s0, 3, v0
	ds_load_2addr_b32 v[0:1], v1 offset0:114 offset1:177
	v_lshlrev_b32_e32 v15, v17, v14
	s_or_b32 vcc_lo, s0, vcc_lo
	s_wait_alu 0xfffe
	v_add_co_ci_u32_e32 v6, vcc_lo, 0, v6, vcc_lo
	s_delay_alu instid0(VALU_DEP_2)
	v_cmp_ne_u32_e32 vcc_lo, v15, v18
	v_mul_f64_e32 v[12:13], s[8:9], v[12:13]
	s_wait_alu 0xfffd
	v_cndmask_b32_e64 v15, 0, 1, vcc_lo
	v_cmp_gt_i32_e32 vcc_lo, 31, v20
	v_and_or_b32 v10, 0x1ff, v11, v10
	v_bfe_u32 v19, v11, 20, 11
	s_delay_alu instid0(VALU_DEP_4)
	v_or_b32_e32 v14, v14, v15
	v_add_nc_u32_e32 v17, 0xfffffc10, v25
	s_wait_alu 0xfffd
	v_cndmask_b32_e32 v6, 0x7c00, v6, vcc_lo
	v_cmp_ne_u32_e32 vcc_lo, 0, v4
	s_wait_dscnt 0x0
	v_lshrrev_b32_e32 v18, 16, v0
	v_lshl_or_b32 v15, v17, 12, v2
	s_wait_alu 0xfffd
	v_cndmask_b32_e64 v4, 0, 1, vcc_lo
	v_cmp_gt_i32_e32 vcc_lo, 1, v17
	v_mul_f16_e32 v21, v24, v18
	s_delay_alu instid0(VALU_DEP_3)
	v_lshl_or_b32 v4, v4, 9, 0x7c00
	s_wait_alu 0xfffd
	v_cndmask_b32_e32 v14, v15, v14, vcc_lo
	v_cmp_ne_u32_e32 vcc_lo, 0, v10
	v_lshrrev_b32_e32 v15, 8, v11
	v_fmac_f16_e32 v21, v126, v0
	v_mul_f16_e32 v0, v24, v0
	v_and_b32_e32 v22, 7, v14
	s_wait_alu 0xfffd
	v_cndmask_b32_e64 v10, 0, 1, vcc_lo
	v_lshrrev_b32_e32 v24, 16, v119
	v_fma_f16 v0, v126, v18, -v0
	v_cmp_lt_i32_e32 vcc_lo, 5, v22
	s_delay_alu instid0(VALU_DEP_4) | instskip(SKIP_3) | instid1(VALU_DEP_4)
	v_and_or_b32 v10, 0xffe, v15, v10
	v_sub_nc_u32_e32 v15, 0x3f1, v19
	v_cmp_eq_u32_e64 s0, 3, v22
	v_cvt_f32_f16_e32 v0, v0
	v_or_b32_e32 v22, 0x1000, v10
	s_delay_alu instid0(VALU_DEP_4)
	v_med3_i32 v23, v15, 0, 13
	v_cvt_f32_f16_e32 v15, v21
	v_lshrrev_b32_e32 v21, 16, v5
	s_or_b32 vcc_lo, s0, vcc_lo
	v_and_or_b32 v12, 0x1ff, v13, v12
	v_lshrrev_b32_e32 v20, v23, v22
	s_delay_alu instid0(VALU_DEP_1) | instskip(SKIP_4) | instid1(VALU_DEP_4)
	v_lshlrev_b32_e32 v5, v23, v20
	v_cndmask_b32_e64 v6, v6, v4, s1
	v_lshrrev_b32_e32 v4, 2, v14
	v_cvt_f64_f32_e32 v[14:15], v15
	v_add_co_u32 v8, s1, v8, s4
	v_and_or_b32 v6, 0x8000, v21, v6
	s_wait_alu 0xfffe
	v_add_co_ci_u32_e32 v4, vcc_lo, 0, v4, vcc_lo
	v_cmp_ne_u32_e32 vcc_lo, 0, v2
	s_wait_alu 0xf1ff
	v_add_co_ci_u32_e64 v9, s1, s5, v9, s1
	v_and_b32_e32 v6, 0xffff, v6
	s_wait_alu 0xfffd
	v_cndmask_b32_e64 v2, 0, 1, vcc_lo
	v_cmp_gt_i32_e32 vcc_lo, 31, v17
	s_delay_alu instid0(VALU_DEP_2)
	v_lshl_or_b32 v2, v2, 9, 0x7c00
	s_wait_alu 0xfffd
	v_cndmask_b32_e32 v4, 0x7c00, v4, vcc_lo
	v_cmp_ne_u32_e32 vcc_lo, v5, v22
	v_bfe_u32 v22, v13, 20, 11
	s_wait_alu 0xfffd
	v_cndmask_b32_e64 v5, 0, 1, vcc_lo
	v_cmp_eq_u32_e32 vcc_lo, 0x40f, v17
	v_add_nc_u32_e32 v19, 0xfffffc10, v19
	s_delay_alu instid0(VALU_DEP_3)
	v_or_b32_e32 v17, v20, v5
	s_wait_alu 0xfffd
	v_cndmask_b32_e32 v2, v4, v2, vcc_lo
	v_cmp_ne_u32_e32 vcc_lo, 0, v12
	v_cvt_f64_f32_e32 v[4:5], v0
	v_lshl_or_b32 v18, v19, 12, v10
	v_lshrrev_b32_e32 v20, 8, v13
	v_lshrrev_b32_e32 v13, 16, v13
	s_wait_alu 0xfffd
	v_cndmask_b32_e64 v12, 0, 1, vcc_lo
	v_cmp_gt_i32_e32 vcc_lo, 1, v19
	s_delay_alu instid0(VALU_DEP_2)
	v_and_or_b32 v12, 0xffe, v20, v12
	s_wait_alu 0xfffd
	v_cndmask_b32_e32 v0, v18, v17, vcc_lo
	v_sub_nc_u32_e32 v17, 0x3f1, v22
	v_and_or_b32 v20, 0x8000, v3, v2
	v_mul_f64_e32 v[2:3], s[8:9], v[14:15]
	v_or_b32_e32 v21, 0x1000, v12
	v_and_b32_e32 v18, 7, v0
	v_med3_i32 v17, v17, 0, 13
	s_delay_alu instid0(VALU_DEP_2) | instskip(NEXT) | instid1(VALU_DEP_2)
	v_cmp_lt_i32_e32 vcc_lo, 5, v18
	v_lshrrev_b32_e32 v14, v17, v21
	v_cmp_eq_u32_e64 s0, 3, v18
	v_lshl_or_b32 v18, v20, 16, v6
	v_lshrrev_b32_e32 v20, 16, v7
	s_delay_alu instid0(VALU_DEP_4)
	v_lshlrev_b32_e32 v6, v17, v14
	v_add_nc_u32_e32 v17, 0xfffffc10, v22
	v_lshrrev_b32_e32 v0, 2, v0
	s_or_b32 vcc_lo, s0, vcc_lo
	v_lshrrev_b32_e32 v22, 16, v124
	s_wait_alu 0xfffe
	s_delay_alu instid0(VALU_DEP_2) | instskip(SKIP_1) | instid1(VALU_DEP_3)
	v_add_co_ci_u32_e32 v0, vcc_lo, 0, v0, vcc_lo
	v_cmp_ne_u32_e32 vcc_lo, 0, v10
	v_mul_f16_e32 v15, v22, v20
	v_mul_f64_e32 v[4:5], s[8:9], v[4:5]
	s_wait_alu 0xfffd
	v_cndmask_b32_e64 v10, 0, 1, vcc_lo
	v_cmp_ne_u32_e32 vcc_lo, v6, v21
	v_fmac_f16_e32 v15, v124, v7
	v_mul_f16_e32 v7, v22, v7
	s_delay_alu instid0(VALU_DEP_4) | instskip(SKIP_4) | instid1(VALU_DEP_3)
	v_lshl_or_b32 v10, v10, 9, 0x7c00
	s_wait_alu 0xfffd
	v_cndmask_b32_e64 v6, 0, 1, vcc_lo
	v_cmp_gt_i32_e32 vcc_lo, 31, v19
	v_fma_f16 v7, v124, v20, -v7
	v_or_b32_e32 v6, v14, v6
	s_wait_alu 0xfffd
	v_cndmask_b32_e32 v0, 0x7c00, v0, vcc_lo
	v_lshl_or_b32 v14, v17, 12, v12
	v_cmp_gt_i32_e32 vcc_lo, 1, v17
	v_and_or_b32 v2, 0x1ff, v3, v2
	v_cvt_f32_f16_e32 v7, v7
	s_wait_alu 0xfffd
	v_cndmask_b32_e32 v6, v14, v6, vcc_lo
	v_cvt_f32_f16_e32 v14, v15
	v_cmp_eq_u32_e32 vcc_lo, 0x40f, v19
	v_lshrrev_b32_e32 v19, 16, v11
	v_cmp_ne_u32_e64 s1, 0, v2
	v_and_b32_e32 v21, 7, v6
	v_cvt_f64_f32_e32 v[14:15], v14
	s_wait_alu 0xfffd
	v_cndmask_b32_e32 v0, v0, v10, vcc_lo
	v_add_co_u32 v10, vcc_lo, v8, s2
	s_wait_alu 0xfffd
	v_add_co_ci_u32_e32 v11, vcc_lo, s3, v9, vcc_lo
	v_cmp_lt_i32_e32 vcc_lo, 5, v21
	v_cmp_eq_u32_e64 s0, 3, v21
	v_lshrrev_b32_e32 v6, 2, v6
	v_and_or_b32 v0, 0x8000, v19, v0
	s_wait_alu 0xf1ff
	v_cndmask_b32_e64 v2, 0, 1, s1
	v_lshrrev_b32_e32 v19, 8, v3
	v_bfe_u32 v21, v3, 20, 11
	s_or_b32 vcc_lo, s0, vcc_lo
	v_and_or_b32 v4, 0x1ff, v5, v4
	s_wait_alu 0xfffe
	v_add_co_ci_u32_e32 v6, vcc_lo, 0, v6, vcc_lo
	v_and_or_b32 v2, 0xffe, v19, v2
	v_sub_nc_u32_e32 v19, 0x3f1, v21
	v_add_nc_u32_e32 v21, 0xfffffc10, v21
	v_cmp_ne_u32_e32 vcc_lo, 0, v12
	v_bfe_u32 v23, v5, 20, 11
	v_or_b32_e32 v22, 0x1000, v2
	v_med3_i32 v19, v19, 0, 13
	v_and_b32_e32 v0, 0xffff, v0
	s_wait_alu 0xfffd
	v_cndmask_b32_e64 v12, 0, 1, vcc_lo
	v_cmp_gt_i32_e32 vcc_lo, 31, v17
	s_clause 0x1
	global_store_b32 v[8:9], v16, off
	global_store_b32 v[10:11], v18, off
	v_lshrrev_b32_e32 v20, v19, v22
	v_lshrrev_b32_e32 v18, 16, v1
	v_lshl_or_b32 v12, v12, 9, 0x7c00
	s_wait_alu 0xfffd
	v_cndmask_b32_e32 v6, 0x7c00, v6, vcc_lo
	v_cmp_eq_u32_e32 vcc_lo, 0x40f, v17
	v_lshlrev_b32_e32 v17, v19, v20
	v_lshrrev_b32_e32 v19, 8, v5
	s_wait_alu 0xfffd
	v_cndmask_b32_e32 v12, v6, v12, vcc_lo
	v_cmp_ne_u32_e32 vcc_lo, 0, v4
	v_mul_f64_e32 v[14:15], s[8:9], v[14:15]
	v_cvt_f64_f32_e32 v[6:7], v7
	s_delay_alu instid0(VALU_DEP_4) | instskip(SKIP_3) | instid1(VALU_DEP_3)
	v_and_or_b32 v12, 0x8000, v13, v12
	s_wait_alu 0xfffd
	v_cndmask_b32_e64 v4, 0, 1, vcc_lo
	v_cmp_ne_u32_e32 vcc_lo, v17, v22
	v_lshl_or_b32 v12, v12, 16, v0
	s_delay_alu instid0(VALU_DEP_3)
	v_and_or_b32 v4, 0xffe, v19, v4
	s_wait_alu 0xfffd
	v_cndmask_b32_e64 v17, 0, 1, vcc_lo
	v_sub_nc_u32_e32 v19, 0x3f1, v23
	v_cmp_gt_i32_e32 vcc_lo, 1, v21
	v_or_b32_e32 v22, 0x1000, v4
	s_delay_alu instid0(VALU_DEP_4) | instskip(SKIP_3) | instid1(VALU_DEP_2)
	v_or_b32_e32 v17, v20, v17
	v_lshl_or_b32 v20, v21, 12, v2
	v_med3_i32 v19, v19, 0, 13
	s_wait_alu 0xfffd
	v_cndmask_b32_e32 v13, v20, v17, vcc_lo
	s_delay_alu instid0(VALU_DEP_2) | instskip(SKIP_3) | instid1(VALU_DEP_3)
	v_lshrrev_b32_e32 v17, v19, v22
	v_add_co_u32 v8, vcc_lo, v10, s4
	s_wait_alu 0xfffd
	v_add_co_ci_u32_e32 v9, vcc_lo, s5, v11, vcc_lo
	v_lshlrev_b32_e32 v16, v19, v17
	v_and_b32_e32 v0, 7, v13
	global_store_b32 v[8:9], v12, off
	v_cmp_ne_u32_e64 s0, v16, v22
	v_cmp_lt_i32_e32 vcc_lo, 5, v0
	v_add_nc_u32_e32 v16, 0xfffffc10, v23
	v_lshrrev_b32_e32 v23, 16, v121
	s_wait_alu 0xf1ff
	v_cndmask_b32_e64 v10, 0, 1, s0
	v_cmp_eq_u32_e64 s0, 3, v0
	v_lshrrev_b32_e32 v0, 2, v13
	v_lshl_or_b32 v11, v16, 12, v4
	v_mul_f16_e32 v13, v23, v18
	v_or_b32_e32 v10, v17, v10
	s_or_b32 vcc_lo, s0, vcc_lo
	v_mul_f64_e32 v[6:7], s[8:9], v[6:7]
	s_wait_alu 0xfffe
	v_add_co_ci_u32_e32 v0, vcc_lo, 0, v0, vcc_lo
	v_cmp_gt_i32_e32 vcc_lo, 1, v16
	v_fmac_f16_e32 v13, v121, v1
	v_lshrrev_b32_e32 v19, 8, v15
	v_bfe_u32 v20, v15, 20, 11
	s_wait_alu 0xfffd
	v_cndmask_b32_e32 v17, v11, v10, vcc_lo
	v_and_or_b32 v10, 0x1ff, v15, v14
	v_cmp_gt_i32_e32 vcc_lo, 31, v21
	v_cvt_f32_f16_e32 v11, v13
	v_lshrrev_b32_e32 v15, 16, v15
	s_wait_alu 0xfffd
	v_dual_cndmask_b32 v0, 0x7c00, v0 :: v_dual_and_b32 v13, 7, v17
	v_cmp_ne_u32_e32 vcc_lo, 0, v10
	v_cvt_f64_f32_e32 v[10:11], v11
	s_delay_alu instid0(VALU_DEP_3) | instskip(SKIP_3) | instid1(VALU_DEP_2)
	v_cmp_eq_u32_e64 s0, 3, v13
	s_wait_alu 0xfffd
	v_cndmask_b32_e64 v14, 0, 1, vcc_lo
	v_cmp_ne_u32_e32 vcc_lo, 0, v2
	v_and_or_b32 v14, 0xffe, v19, v14
	s_wait_alu 0xfffd
	v_cndmask_b32_e64 v2, 0, 1, vcc_lo
	v_cmp_lt_i32_e32 vcc_lo, 5, v13
	v_lshrrev_b32_e32 v13, 2, v17
	v_sub_nc_u32_e32 v19, 0x3f1, v20
	v_or_b32_e32 v17, 0x1000, v14
	v_lshl_or_b32 v2, v2, 9, 0x7c00
	s_or_b32 vcc_lo, s0, vcc_lo
	s_wait_alu 0xfffe
	v_add_co_ci_u32_e32 v13, vcc_lo, 0, v13, vcc_lo
	v_cmp_ne_u32_e32 vcc_lo, 0, v4
	v_med3_i32 v19, v19, 0, 13
	s_wait_alu 0xfffd
	v_cndmask_b32_e64 v4, 0, 1, vcc_lo
	v_cmp_eq_u32_e32 vcc_lo, 0x40f, v21
	s_delay_alu instid0(VALU_DEP_3)
	v_lshrrev_b32_e32 v22, v19, v17
	s_wait_alu 0xfffd
	v_cndmask_b32_e32 v21, v0, v2, vcc_lo
	v_cmp_gt_i32_e32 vcc_lo, 31, v16
	v_lshl_or_b32 v2, v4, 9, 0x7c00
	v_lshlrev_b32_e32 v4, v19, v22
	v_bfe_u32 v19, v7, 20, 11
	s_wait_alu 0xfffd
	v_cndmask_b32_e32 v0, 0x7c00, v13, vcc_lo
	v_cmp_eq_u32_e32 vcc_lo, 0x40f, v16
	v_lshrrev_b32_e32 v13, 16, v3
	v_and_or_b32 v3, 0x1ff, v7, v6
	v_add_nc_u32_e32 v16, 0xfffffc10, v20
	s_wait_alu 0xfffd
	v_cndmask_b32_e32 v6, v0, v2, vcc_lo
	v_cmp_ne_u32_e32 vcc_lo, v4, v17
	v_lshrrev_b32_e32 v2, 8, v7
	v_add_nc_u32_e32 v17, 0x200, v93
	s_wait_alu 0xfffd
	v_cndmask_b32_e64 v4, 0, 1, vcc_lo
	v_cmp_ne_u32_e32 vcc_lo, 0, v3
	v_mul_f16_e32 v3, v23, v1
	s_delay_alu instid0(VALU_DEP_3) | instskip(SKIP_4) | instid1(VALU_DEP_3)
	v_or_b32_e32 v4, v22, v4
	s_wait_alu 0xfffd
	v_cndmask_b32_e64 v0, 0, 1, vcc_lo
	v_cmp_gt_i32_e32 vcc_lo, 1, v16
	v_lshrrev_b32_e32 v22, 16, v5
	v_and_or_b32 v20, 0xffe, v2, v0
	v_mul_f64_e32 v[0:1], s[8:9], v[10:11]
	v_fma_f16 v10, v121, v18, -v3
	v_sub_nc_u32_e32 v11, 0x3f1, v19
	ds_load_2addr_b32 v[2:3], v17 offset0:124 offset1:187
	v_lshl_or_b32 v17, v16, 12, v14
	v_or_b32_e32 v18, 0x1000, v20
	v_cvt_f32_f16_e32 v10, v10
	v_med3_i32 v11, v11, 0, 13
	s_wait_alu 0xfffd
	v_cndmask_b32_e32 v17, v17, v4, vcc_lo
	s_delay_alu instid0(VALU_DEP_3) | instskip(SKIP_2) | instid1(VALU_DEP_4)
	v_cvt_f64_f32_e32 v[4:5], v10
	v_and_or_b32 v10, 0x8000, v13, v21
	v_lshrrev_b32_e32 v13, v11, v18
	v_and_b32_e32 v21, 7, v17
	s_delay_alu instid0(VALU_DEP_3) | instskip(NEXT) | instid1(VALU_DEP_3)
	v_and_b32_e32 v12, 0xffff, v10
	v_lshlrev_b32_e32 v10, v11, v13
	s_delay_alu instid0(VALU_DEP_3)
	v_cmp_lt_i32_e32 vcc_lo, 5, v21
	v_cmp_eq_u32_e64 s0, 3, v21
	v_lshrrev_b32_e32 v11, 2, v17
	v_add_nc_u32_e32 v17, 0xfffffc10, v19
	v_cmp_ne_u32_e64 s1, v10, v18
	s_wait_dscnt 0x0
	v_lshrrev_b32_e32 v21, 16, v2
	s_or_b32 vcc_lo, s0, vcc_lo
	v_and_or_b32 v6, 0x8000, v22, v6
	s_wait_alu 0xfffe
	v_add_co_ci_u32_e32 v11, vcc_lo, 0, v11, vcc_lo
	v_cndmask_b32_e64 v10, 0, 1, s1
	v_cmp_ne_u32_e32 vcc_lo, 0, v14
	v_mul_f16_e32 v18, v24, v21
	v_cmp_eq_u32_e64 s1, 0x40f, v16
	s_delay_alu instid0(VALU_DEP_4)
	v_or_b32_e32 v10, v13, v10
	v_lshl_or_b32 v13, v17, 12, v20
	s_wait_alu 0xfffd
	v_cndmask_b32_e64 v14, 0, 1, vcc_lo
	v_cmp_gt_i32_e32 vcc_lo, 1, v17
	v_fmac_f16_e32 v18, v119, v2
	v_and_or_b32 v0, 0x1ff, v1, v0
	v_lshrrev_b32_e32 v22, 8, v1
	v_bfe_u32 v23, v1, 20, 11
	s_wait_alu 0xfffd
	v_cndmask_b32_e32 v13, v13, v10, vcc_lo
	v_cmp_gt_i32_e32 vcc_lo, 31, v16
	v_cvt_f32_f16_e32 v10, v18
	v_lshl_or_b32 v14, v14, 9, 0x7c00
	v_mul_f16_e32 v2, v24, v2
	s_wait_alu 0xfffd
	v_dual_cndmask_b32 v18, 0x7c00, v11 :: v_dual_and_b32 v19, 7, v13
	v_cmp_ne_u32_e32 vcc_lo, 0, v0
	v_cvt_f64_f32_e32 v[10:11], v10
	v_mul_f64_e32 v[4:5], s[8:9], v[4:5]
	s_delay_alu instid0(VALU_DEP_4)
	v_cmp_eq_u32_e64 s0, 3, v19
	v_lshrrev_b32_e32 v13, 2, v13
	s_wait_alu 0xfffd
	v_cndmask_b32_e64 v0, 0, 1, vcc_lo
	v_cmp_lt_i32_e32 vcc_lo, 5, v19
	v_sub_nc_u32_e32 v19, 0x3f1, v23
	s_wait_alu 0xf1ff
	v_cndmask_b32_e64 v14, v18, v14, s1
	v_fma_f16 v2, v119, v21, -v2
	v_and_or_b32 v0, 0xffe, v22, v0
	s_or_b32 vcc_lo, s0, vcc_lo
	v_med3_i32 v18, v19, 0, 13
	s_wait_alu 0xfffe
	v_add_co_ci_u32_e32 v13, vcc_lo, 0, v13, vcc_lo
	v_or_b32_e32 v16, 0x1000, v0
	v_cmp_ne_u32_e32 vcc_lo, 0, v20
	v_lshl_or_b32 v22, v6, 16, v12
	v_and_or_b32 v14, 0x8000, v15, v14
	v_add_nc_u32_e32 v12, 0xe00, v93
	v_lshrrev_b32_e32 v20, v18, v16
	s_wait_alu 0xfffd
	v_cndmask_b32_e64 v19, 0, 1, vcc_lo
	v_cmp_gt_i32_e32 vcc_lo, 31, v17
	v_cvt_f32_f16_e32 v2, v2
	v_and_b32_e32 v14, 0xffff, v14
	v_lshlrev_b32_e32 v6, v18, v20
	v_lshl_or_b32 v19, v19, 9, 0x7c00
	s_wait_alu 0xfffd
	v_cndmask_b32_e32 v13, 0x7c00, v13, vcc_lo
	v_cmp_eq_u32_e32 vcc_lo, 0x40f, v17
	v_add_nc_u32_e32 v18, 0xfffffc10, v23
	v_lshrrev_b32_e32 v1, 16, v1
	s_wait_alu 0xfffd
	v_cndmask_b32_e32 v15, v13, v19, vcc_lo
	v_cmp_ne_u32_e32 vcc_lo, v6, v16
	v_lshrrev_b32_e32 v16, 16, v7
	v_lshl_or_b32 v17, v18, 12, v0
	s_wait_alu 0xfffd
	v_cndmask_b32_e64 v6, 0, 1, vcc_lo
	v_cmp_gt_i32_e32 vcc_lo, 1, v18
	v_and_or_b32 v4, 0x1ff, v5, v4
	v_bfe_u32 v19, v5, 20, 11
	s_delay_alu instid0(VALU_DEP_4)
	v_or_b32_e32 v13, v20, v6
	v_mul_f64_e32 v[6:7], s[8:9], v[10:11]
	ds_load_2addr_b32 v[10:11], v12 offset0:112 offset1:175
	s_wait_alu 0xfffd
	v_cndmask_b32_e32 v17, v17, v13, vcc_lo
	v_cmp_ne_u32_e32 vcc_lo, 0, v4
	v_cvt_f64_f32_e32 v[12:13], v2
	v_and_or_b32 v2, 0x8000, v16, v15
	v_lshrrev_b32_e32 v16, 8, v5
	v_and_b32_e32 v15, 7, v17
	s_wait_alu 0xfffd
	v_cndmask_b32_e64 v4, 0, 1, vcc_lo
	v_add_co_u32 v8, vcc_lo, v8, s2
	v_lshl_or_b32 v2, v2, 16, v14
	v_sub_nc_u32_e32 v14, 0x3f1, v19
	s_delay_alu instid0(VALU_DEP_4)
	v_and_or_b32 v4, 0xffe, v16, v4
	s_wait_alu 0xfffd
	v_add_co_ci_u32_e32 v9, vcc_lo, s3, v9, vcc_lo
	v_cmp_lt_i32_e32 vcc_lo, 5, v15
	v_cmp_eq_u32_e64 s0, 3, v15
	v_lshrrev_b32_e32 v15, 2, v17
	v_or_b32_e32 v16, 0x1000, v4
	v_med3_i32 v17, v14, 0, 13
	s_wait_dscnt 0x0
	v_lshrrev_b32_e32 v20, 16, v10
	s_or_b32 vcc_lo, s0, vcc_lo
	v_lshrrev_b32_e32 v5, 16, v5
	s_wait_alu 0xfffe
	v_add_co_ci_u32_e32 v23, vcc_lo, 0, v15, vcc_lo
	v_lshrrev_b32_e32 v24, v17, v16
	v_add_co_u32 v14, vcc_lo, v8, s4
	s_wait_alu 0xfffd
	v_add_co_ci_u32_e32 v15, vcc_lo, s5, v9, vcc_lo
	s_delay_alu instid0(VALU_DEP_3)
	v_lshlrev_b32_e32 v17, v17, v24
	v_cmp_gt_i32_e32 vcc_lo, 31, v18
	v_mul_f16_e32 v21, v28, v20
	global_store_b32 v[8:9], v22, off
	global_store_b32 v[14:15], v2, off
	v_and_or_b32 v6, 0x1ff, v7, v6
	s_wait_alu 0xfffd
	v_cndmask_b32_e32 v23, 0x7c00, v23, vcc_lo
	v_cmp_ne_u32_e32 vcc_lo, v17, v16
	v_fmac_f16_e32 v21, v116, v10
	v_bfe_u32 v26, v7, 20, 11
	v_mul_f16_e32 v10, v28, v10
	v_mul_f64_e32 v[12:13], s[8:9], v[12:13]
	s_wait_alu 0xfffd
	v_cndmask_b32_e64 v25, 0, 1, vcc_lo
	v_cmp_ne_u32_e32 vcc_lo, 0, v6
	v_cvt_f32_f16_e32 v21, v21
	s_delay_alu instid0(VALU_DEP_3)
	v_or_b32_e32 v24, v24, v25
	s_wait_alu 0xfffd
	v_cndmask_b32_e64 v6, 0, 1, vcc_lo
	v_cmp_ne_u32_e32 vcc_lo, 0, v0
	v_cvt_f64_f32_e32 v[16:17], v21
	v_lshrrev_b32_e32 v21, 8, v7
	s_wait_alu 0xfffd
	v_cndmask_b32_e64 v0, 0, 1, vcc_lo
	s_delay_alu instid0(VALU_DEP_2) | instskip(SKIP_1) | instid1(VALU_DEP_3)
	v_and_or_b32 v6, 0xffe, v21, v6
	v_sub_nc_u32_e32 v21, 0x3f1, v26
	v_lshl_or_b32 v0, v0, 9, 0x7c00
	v_add_nc_u32_e32 v19, 0xfffffc10, v19
	s_delay_alu instid0(VALU_DEP_4) | instskip(NEXT) | instid1(VALU_DEP_4)
	v_or_b32_e32 v27, 0x1000, v6
	v_med3_i32 v21, v21, 0, 13
	s_delay_alu instid0(VALU_DEP_3) | instskip(SKIP_2) | instid1(VALU_DEP_2)
	v_lshl_or_b32 v25, v19, 12, v4
	v_cmp_gt_i32_e32 vcc_lo, 1, v19
	s_wait_alu 0xfffd
	v_cndmask_b32_e32 v24, v25, v24, vcc_lo
	v_cmp_eq_u32_e32 vcc_lo, 0x40f, v18
	v_lshrrev_b32_e32 v18, v21, v27
	scratch_load_b32 v25, off, off offset:76 th:TH_LOAD_LU ; 4-byte Folded Reload
	s_wait_alu 0xfffd
	v_cndmask_b32_e32 v0, v23, v0, vcc_lo
	v_lshlrev_b32_e32 v2, v21, v18
	v_and_b32_e32 v23, 7, v24
	v_and_or_b32 v12, 0x1ff, v13, v12
	s_delay_alu instid0(VALU_DEP_4) | instskip(NEXT) | instid1(VALU_DEP_4)
	v_and_or_b32 v21, 0x8000, v1, v0
	v_cmp_ne_u32_e64 s1, v2, v27
	v_add_nc_u32_e32 v2, 0xfffffc10, v26
	scratch_load_b32 v26, off, off offset:92 th:TH_LOAD_LU ; 4-byte Folded Reload
	v_cmp_lt_i32_e32 vcc_lo, 5, v23
	v_cmp_eq_u32_e64 s0, 3, v23
	v_lshrrev_b32_e32 v0, 2, v24
	s_wait_alu 0xf1ff
	v_cndmask_b32_e64 v1, 0, 1, s1
	v_lshl_or_b32 v9, v2, 12, v6
	v_cmp_eq_u32_e64 s1, 0x40f, v19
	s_or_b32 vcc_lo, s0, vcc_lo
	s_wait_alu 0xfffe
	v_add_co_ci_u32_e32 v22, vcc_lo, 0, v0, vcc_lo
	v_or_b32_e32 v8, v18, v1
	v_cmp_gt_i32_e32 vcc_lo, 1, v2
	v_mul_f64_e32 v[0:1], s[8:9], v[16:17]
	s_wait_alu 0xfffd
	s_delay_alu instid0(VALU_DEP_3)
	v_cndmask_b32_e32 v16, v9, v8, vcc_lo
	v_cmp_ne_u32_e32 vcc_lo, 0, v12
	v_fma_f16 v8, v116, v20, -v10
	v_lshrrev_b32_e32 v10, 8, v13
	v_bfe_u32 v12, v13, 20, 11
	v_and_b32_e32 v17, 7, v16
	s_wait_alu 0xfffd
	v_cndmask_b32_e64 v9, 0, 1, vcc_lo
	v_cmp_ne_u32_e32 vcc_lo, 0, v4
	v_cvt_f32_f16_e32 v8, v8
	v_sub_nc_u32_e32 v18, 0x3f1, v12
	v_cmp_eq_u32_e64 s0, 3, v17
	v_and_or_b32 v10, 0xffe, v10, v9
	s_wait_alu 0xfffd
	v_cndmask_b32_e64 v4, 0, 1, vcc_lo
	v_cmp_gt_i32_e32 vcc_lo, 31, v19
	v_cvt_f64_f32_e32 v[8:9], v8
	v_med3_i32 v18, v18, 0, 13
	v_lshrrev_b32_e32 v16, 2, v16
	v_lshl_or_b32 v4, v4, 9, 0x7c00
	s_wait_alu 0xfffd
	v_cndmask_b32_e32 v20, 0x7c00, v22, vcc_lo
	v_or_b32_e32 v22, 0x1000, v10
	v_cmp_lt_i32_e32 vcc_lo, 5, v17
	v_add_nc_u32_e32 v12, 0xfffffc10, v12
	s_delay_alu instid0(VALU_DEP_4) | instskip(NEXT) | instid1(VALU_DEP_4)
	v_cndmask_b32_e64 v4, v20, v4, s1
	v_lshrrev_b32_e32 v17, v18, v22
	s_or_b32 vcc_lo, s0, vcc_lo
	v_and_b32_e32 v20, 0xffff, v21
	s_wait_alu 0xfffe
	v_add_co_ci_u32_e32 v16, vcc_lo, 0, v16, vcc_lo
	v_lshlrev_b32_e32 v18, v18, v17
	v_cmp_gt_i32_e32 vcc_lo, 31, v2
	v_and_or_b32 v19, 0x8000, v5, v4
	v_lshl_or_b32 v5, v12, 12, v10
	v_and_or_b32 v0, 0x1ff, v1, v0
	s_wait_alu 0xfffd
	v_cndmask_b32_e32 v16, 0x7c00, v16, vcc_lo
	v_cmp_ne_u32_e32 vcc_lo, v18, v22
	v_lshrrev_b32_e32 v21, 8, v1
	v_bfe_u32 v22, v1, 20, 11
	v_lshrrev_b32_e32 v18, 16, v3
	s_wait_alu 0xfffd
	v_cndmask_b32_e64 v4, 0, 1, vcc_lo
	v_cmp_ne_u32_e32 vcc_lo, 0, v6
	s_delay_alu instid0(VALU_DEP_2) | instskip(SKIP_3) | instid1(VALU_DEP_2)
	v_or_b32_e32 v4, v17, v4
	s_wait_alu 0xfffd
	v_cndmask_b32_e64 v6, 0, 1, vcc_lo
	v_cmp_ne_u32_e32 vcc_lo, 0, v0
	v_lshl_or_b32 v6, v6, 9, 0x7c00
	s_wait_alu 0xfffd
	v_cndmask_b32_e64 v0, 0, 1, vcc_lo
	v_cmp_gt_i32_e32 vcc_lo, 1, v12
	s_delay_alu instid0(VALU_DEP_2)
	v_and_or_b32 v0, 0xffe, v21, v0
	s_wait_alu 0xfffd
	v_cndmask_b32_e32 v23, v5, v4, vcc_lo
	v_mul_f64_e32 v[4:5], s[8:9], v[8:9]
	v_sub_nc_u32_e32 v8, 0x3f1, v22
	v_cmp_eq_u32_e32 vcc_lo, 0x40f, v2
	v_or_b32_e32 v21, 0x1000, v0
	s_delay_alu instid0(VALU_DEP_3)
	v_med3_i32 v24, v8, 0, 13
	s_wait_alu 0xfffd
	v_cndmask_b32_e32 v2, v16, v6, vcc_lo
	v_lshrrev_b32_e32 v6, 16, v7
	v_lshl_or_b32 v16, v19, 16, v20
	v_add_nc_u32_e32 v19, 0xfffffc10, v22
	v_lshrrev_b32_e32 v7, v24, v21
	s_delay_alu instid0(VALU_DEP_4) | instskip(NEXT) | instid1(VALU_DEP_2)
	v_and_or_b32 v2, 0x8000, v6, v2
	v_lshlrev_b32_e32 v6, v24, v7
	scratch_load_b32 v24, off, off offset:88 th:TH_LOAD_LU ; 4-byte Folded Reload
	v_bfe_u32 v20, v5, 20, 11
	v_and_or_b32 v4, 0x1ff, v5, v4
	s_wait_loadcnt 0x1
	v_mul_f16_e32 v17, v26, v18
	s_delay_alu instid0(VALU_DEP_1) | instskip(SKIP_1) | instid1(VALU_DEP_2)
	v_fmac_f16_e32 v17, v25, v3
	v_mul_f16_e32 v3, v26, v3
	v_cvt_f32_f16_e32 v9, v17
	v_and_b32_e32 v17, 7, v23
	s_delay_alu instid0(VALU_DEP_3)
	v_fma_f16 v3, v25, v18, -v3
	v_lshrrev_b32_e32 v18, 8, v5
	v_lshrrev_b32_e32 v5, 16, v5
	v_cvt_f64_f32_e32 v[8:9], v9
	v_cmp_lt_i32_e32 vcc_lo, 5, v17
	v_cmp_eq_u32_e64 s0, 3, v17
	v_lshrrev_b32_e32 v17, 2, v23
	scratch_load_b32 v23, off, off offset:84 th:TH_LOAD_LU ; 4-byte Folded Reload
	s_or_b32 vcc_lo, s0, vcc_lo
	s_wait_alu 0xfffe
	v_add_co_ci_u32_e32 v17, vcc_lo, 0, v17, vcc_lo
	v_cmp_ne_u32_e32 vcc_lo, 0, v10
	s_wait_alu 0xfffd
	v_cndmask_b32_e64 v10, 0, 1, vcc_lo
	v_cmp_ne_u32_e32 vcc_lo, v6, v21
	v_lshrrev_b32_e32 v21, 16, v122
	s_delay_alu instid0(VALU_DEP_3) | instskip(SKIP_3) | instid1(VALU_DEP_2)
	v_lshl_or_b32 v10, v10, 9, 0x7c00
	s_wait_alu 0xfffd
	v_cndmask_b32_e64 v6, 0, 1, vcc_lo
	v_cmp_gt_i32_e32 vcc_lo, 31, v12
	v_or_b32_e32 v6, v7, v6
	s_wait_alu 0xfffd
	v_cndmask_b32_e32 v17, 0x7c00, v17, vcc_lo
	v_cmp_eq_u32_e32 vcc_lo, 0x40f, v12
	v_lshl_or_b32 v7, v19, 12, v0
	v_lshrrev_b32_e32 v12, 16, v13
	s_wait_alu 0xfffd
	v_cndmask_b32_e32 v10, v17, v10, vcc_lo
	v_cmp_gt_i32_e32 vcc_lo, 1, v19
	s_delay_alu instid0(VALU_DEP_2)
	v_and_or_b32 v10, 0x8000, v12, v10
	s_wait_alu 0xfffd
	v_cndmask_b32_e32 v13, v7, v6, vcc_lo
	v_cvt_f32_f16_e32 v6, v3
	v_cmp_ne_u32_e32 vcc_lo, 0, v4
	v_and_b32_e32 v12, 0xffff, v2
	v_mul_f64_e32 v[2:3], s[8:9], v[8:9]
	v_and_b32_e32 v17, 7, v13
	v_cvt_f64_f32_e32 v[6:7], v6
	s_wait_alu 0xfffd
	v_cndmask_b32_e64 v4, 0, 1, vcc_lo
	v_lshl_or_b32 v10, v10, 16, v12
	v_sub_nc_u32_e32 v12, 0x3f1, v20
	v_add_co_u32 v8, vcc_lo, v14, s2
	s_delay_alu instid0(VALU_DEP_4)
	v_and_or_b32 v4, 0xffe, v18, v4
	s_wait_alu 0xfffd
	v_add_co_ci_u32_e32 v9, vcc_lo, s3, v15, vcc_lo
	v_cmp_lt_i32_e32 vcc_lo, 5, v17
	v_cmp_eq_u32_e64 s0, 3, v17
	v_or_b32_e32 v15, 0x1000, v4
	v_med3_i32 v17, v12, 0, 13
	v_lshrrev_b32_e32 v14, 2, v13
	v_add_co_u32 v12, s1, v8, s4
	s_or_b32 vcc_lo, s0, vcc_lo
	s_delay_alu instid0(VALU_DEP_3)
	v_lshrrev_b32_e32 v18, v17, v15
	s_wait_alu 0xfffe
	v_add_co_ci_u32_e32 v14, vcc_lo, 0, v14, vcc_lo
	v_add_co_ci_u32_e64 v13, s1, s5, v9, s1
	global_store_b32 v[8:9], v16, off
	v_lshlrev_b32_e32 v8, v17, v18
	v_cmp_gt_i32_e32 vcc_lo, 31, v19
	global_store_b32 v[12:13], v10, off
	s_wait_alu 0xfffd
	v_cndmask_b32_e32 v10, 0x7c00, v14, vcc_lo
	v_cmp_ne_u32_e32 vcc_lo, v8, v15
	v_add_nc_u32_e32 v15, 0xfffffc10, v20
	v_lshrrev_b32_e32 v14, 16, v11
	s_wait_alu 0xfffd
	v_cndmask_b32_e64 v8, 0, 1, vcc_lo
	v_cmp_ne_u32_e32 vcc_lo, 0, v0
	v_lshl_or_b32 v16, v15, 12, v4
	v_and_or_b32 v2, 0x1ff, v3, v2
	v_mul_f16_e32 v9, v21, v14
	v_or_b32_e32 v8, v18, v8
	s_wait_alu 0xfffd
	v_cndmask_b32_e64 v0, 0, 1, vcc_lo
	v_cmp_gt_i32_e32 vcc_lo, 1, v15
	v_mul_f64_e32 v[6:7], s[8:9], v[6:7]
	v_fmac_f16_e32 v9, v122, v11
	v_bfe_u32 v17, v3, 20, 11
	v_lshl_or_b32 v0, v0, 9, 0x7c00
	s_wait_alu 0xfffd
	v_cndmask_b32_e32 v16, v16, v8, vcc_lo
	v_cmp_ne_u32_e32 vcc_lo, 0, v2
	v_lshrrev_b32_e32 v8, 8, v3
	v_cvt_f32_f16_e32 v9, v9
	v_sub_nc_u32_e32 v20, 0x3f1, v17
	v_and_b32_e32 v18, 7, v16
	s_wait_alu 0xfffd
	v_cndmask_b32_e64 v2, 0, 1, vcc_lo
	v_cmp_eq_u32_e32 vcc_lo, 0x40f, v19
	s_delay_alu instid0(VALU_DEP_3) | instskip(NEXT) | instid1(VALU_DEP_3)
	v_cmp_eq_u32_e64 s0, 3, v18
	v_and_or_b32 v2, 0xffe, v8, v2
	v_cvt_f64_f32_e32 v[8:9], v9
	s_wait_alu 0xfffd
	v_cndmask_b32_e32 v19, v10, v0, vcc_lo
	v_cmp_lt_i32_e32 vcc_lo, 5, v18
	v_lshrrev_b32_e32 v18, 16, v1
	v_lshrrev_b32_e32 v1, 2, v16
	v_or_b32_e32 v10, 0x1000, v2
	v_mul_f16_e32 v0, v21, v11
	v_med3_i32 v11, v20, 0, 13
	s_or_b32 vcc_lo, s0, vcc_lo
	s_wait_alu 0xfffe
	v_add_co_ci_u32_e32 v1, vcc_lo, 0, v1, vcc_lo
	v_fma_f16 v0, v122, v14, -v0
	v_lshrrev_b32_e32 v14, v11, v10
	v_cmp_ne_u32_e32 vcc_lo, 0, v4
	s_delay_alu instid0(VALU_DEP_3)
	v_cvt_f32_f16_e32 v0, v0
	s_wait_alu 0xfffd
	v_cndmask_b32_e64 v4, 0, 1, vcc_lo
	v_cmp_gt_i32_e32 vcc_lo, 31, v15
	v_lshlrev_b32_e32 v11, v11, v14
	v_and_or_b32 v6, 0x1ff, v7, v6
	v_bfe_u32 v20, v7, 20, 11
	v_lshl_or_b32 v4, v4, 9, 0x7c00
	s_wait_alu 0xfffd
	v_cndmask_b32_e32 v16, 0x7c00, v1, vcc_lo
	v_cmp_ne_u32_e32 vcc_lo, v11, v10
	v_cvt_f64_f32_e32 v[0:1], v0
	s_wait_alu 0xfffd
	v_cndmask_b32_e64 v10, 0, 1, vcc_lo
	v_cmp_eq_u32_e32 vcc_lo, 0x40f, v15
	v_add_nc_u32_e32 v17, 0xfffffc10, v17
	s_delay_alu instid0(VALU_DEP_3)
	v_or_b32_e32 v14, v14, v10
	s_wait_alu 0xfffd
	v_cndmask_b32_e32 v4, v16, v4, vcc_lo
	v_cmp_ne_u32_e32 vcc_lo, 0, v6
	v_lshl_or_b32 v15, v17, 12, v2
	v_mul_f64_e32 v[8:9], s[8:9], v[8:9]
	v_lshrrev_b32_e32 v16, 8, v7
	v_and_or_b32 v4, 0x8000, v5, v4
	s_wait_alu 0xfffd
	v_cndmask_b32_e64 v6, 0, 1, vcc_lo
	v_cmp_gt_i32_e32 vcc_lo, 1, v17
	v_add_nc_u32_e32 v11, 0x400, v93
	v_lshrrev_b32_e32 v7, 16, v7
	s_delay_alu instid0(VALU_DEP_4)
	v_and_or_b32 v6, 0xffe, v16, v6
	s_wait_alu 0xfffd
	v_cndmask_b32_e32 v14, v15, v14, vcc_lo
	ds_load_2addr_b32 v[10:11], v11 offset0:122 offset1:185
	v_and_or_b32 v15, 0x8000, v18, v19
	v_sub_nc_u32_e32 v16, 0x3f1, v20
	v_and_b32_e32 v18, 7, v14
	s_delay_alu instid0(VALU_DEP_3) | instskip(SKIP_1) | instid1(VALU_DEP_4)
	v_and_b32_e32 v5, 0xffff, v15
	v_or_b32_e32 v15, 0x1000, v6
	v_med3_i32 v16, v16, 0, 13
	s_delay_alu instid0(VALU_DEP_4) | instskip(SKIP_4) | instid1(VALU_DEP_4)
	v_cmp_lt_i32_e32 vcc_lo, 5, v18
	v_cmp_eq_u32_e64 s0, 3, v18
	v_lshl_or_b32 v18, v4, 16, v5
	v_lshrrev_b32_e32 v4, 2, v14
	v_lshrrev_b32_e32 v14, v16, v15
	s_or_b32 vcc_lo, s0, vcc_lo
	v_mul_f64_e32 v[0:1], s[8:9], v[0:1]
	s_wait_alu 0xfffe
	v_add_co_ci_u32_e32 v21, vcc_lo, 0, v4, vcc_lo
	v_add_co_u32 v4, vcc_lo, v12, s2
	s_wait_dscnt 0x0
	v_lshrrev_b32_e32 v19, 16, v10
	s_wait_alu 0xfffd
	v_add_co_ci_u32_e32 v5, vcc_lo, s3, v13, vcc_lo
	v_lshlrev_b32_e32 v16, v16, v14
	v_cmp_gt_i32_e32 vcc_lo, 31, v17
	s_wait_loadcnt 0x1
	v_mul_f16_e32 v22, v24, v19
	global_store_b32 v[4:5], v18, off
	v_and_or_b32 v8, 0x1ff, v9, v8
	s_wait_alu 0xfffd
	v_cndmask_b32_e32 v21, 0x7c00, v21, vcc_lo
	v_cmp_ne_u32_e32 vcc_lo, v16, v15
	v_add_nc_u32_e32 v16, 0xfffffc10, v20
	v_bfe_u32 v20, v9, 20, 11
	s_wait_alu 0xfffd
	v_cndmask_b32_e64 v12, 0, 1, vcc_lo
	v_cmp_ne_u32_e32 vcc_lo, 0, v2
	v_lshl_or_b32 v15, v16, 12, v6
	s_delay_alu instid0(VALU_DEP_3) | instskip(SKIP_3) | instid1(VALU_DEP_2)
	v_or_b32_e32 v14, v14, v12
	s_wait_alu 0xfffd
	v_cndmask_b32_e64 v2, 0, 1, vcc_lo
	v_cmp_gt_i32_e32 vcc_lo, 1, v16
	v_lshl_or_b32 v2, v2, 9, 0x7c00
	s_wait_alu 0xfffd
	v_cndmask_b32_e32 v14, v15, v14, vcc_lo
	v_cmp_ne_u32_e32 vcc_lo, 0, v8
	v_lshrrev_b32_e32 v15, 8, v9
	v_lshrrev_b32_e32 v9, 16, v9
	s_wait_alu 0xfffd
	v_cndmask_b32_e64 v8, 0, 1, vcc_lo
	v_cmp_eq_u32_e32 vcc_lo, 0x40f, v17
	v_and_or_b32 v0, 0x1ff, v1, v0
	s_delay_alu instid0(VALU_DEP_3)
	v_and_or_b32 v8, 0xffe, v15, v8
	s_wait_alu 0xfffd
	v_cndmask_b32_e32 v17, v21, v2, vcc_lo
	v_sub_nc_u32_e32 v2, 0x3f1, v20
	v_lshrrev_b32_e32 v21, 16, v3
	v_mul_f16_e32 v3, v24, v10
	v_or_b32_e32 v15, 0x1000, v8
	v_add_nc_u32_e32 v20, 0xfffffc10, v20
	v_med3_i32 v2, v2, 0, 13
	s_delay_alu instid0(VALU_DEP_2)
	v_lshl_or_b32 v25, v20, 12, v8
	v_cmp_eq_u32_e64 s1, 0x40f, v20
	s_wait_loadcnt 0x0
	v_fmac_f16_e32 v22, v23, v10
	v_fma_f16 v3, v23, v19, -v3
	v_lshrrev_b32_e32 v10, 8, v1
	v_bfe_u32 v19, v1, 20, 11
	s_delay_alu instid0(VALU_DEP_4) | instskip(SKIP_3) | instid1(VALU_DEP_4)
	v_cvt_f32_f16_e32 v13, v22
	v_and_b32_e32 v22, 7, v14
	v_lshrrev_b32_e32 v14, 2, v14
	v_cvt_f32_f16_e32 v3, v3
	v_cvt_f64_f32_e32 v[12:13], v13
	s_delay_alu instid0(VALU_DEP_4) | instskip(SKIP_1) | instid1(VALU_DEP_1)
	v_cmp_lt_i32_e32 vcc_lo, 5, v22
	v_cmp_eq_u32_e64 s0, 3, v22
	s_or_b32 vcc_lo, s0, vcc_lo
	s_wait_alu 0xfffe
	v_add_co_ci_u32_e32 v22, vcc_lo, 0, v14, vcc_lo
	v_lshrrev_b32_e32 v14, v2, v15
	v_cmp_ne_u32_e32 vcc_lo, 0, v6
	s_delay_alu instid0(VALU_DEP_2) | instskip(SKIP_3) | instid1(VALU_DEP_2)
	v_lshlrev_b32_e32 v2, v2, v14
	s_wait_alu 0xfffd
	v_cndmask_b32_e64 v6, 0, 1, vcc_lo
	v_cmp_ne_u32_e32 vcc_lo, 0, v0
	v_lshl_or_b32 v6, v6, 9, 0x7c00
	s_wait_alu 0xfffd
	v_cndmask_b32_e64 v0, 0, 1, vcc_lo
	v_cmp_ne_u32_e32 vcc_lo, v2, v15
	v_cvt_f64_f32_e32 v[2:3], v3
	s_delay_alu instid0(VALU_DEP_3)
	v_and_or_b32 v0, 0xffe, v10, v0
	s_wait_alu 0xfffd
	v_cndmask_b32_e64 v15, 0, 1, vcc_lo
	v_sub_nc_u32_e32 v10, 0x3f1, v19
	v_cmp_gt_i32_e32 vcc_lo, 31, v16
	v_or_b32_e32 v26, 0x1000, v0
	s_delay_alu instid0(VALU_DEP_4) | instskip(NEXT) | instid1(VALU_DEP_4)
	v_or_b32_e32 v24, v14, v15
	v_med3_i32 v10, v10, 0, 13
	s_wait_alu 0xfffd
	v_cndmask_b32_e32 v22, 0x7c00, v22, vcc_lo
	v_add_nc_u32_e32 v23, 0x1000, v93
	v_mul_f64_e32 v[12:13], s[8:9], v[12:13]
	v_cmp_gt_i32_e32 vcc_lo, 1, v20
	ds_load_2addr_b32 v[14:15], v23 offset0:110 offset1:173
	s_wait_alu 0xfffd
	v_cndmask_b32_e32 v23, v25, v24, vcc_lo
	v_lshrrev_b32_e32 v24, v10, v26
	v_cmp_eq_u32_e32 vcc_lo, 0x40f, v16
	v_and_or_b32 v16, 0x8000, v21, v17
	v_lshrrev_b32_e32 v25, 16, v117
	v_and_b32_e32 v17, 7, v23
	v_lshlrev_b32_e32 v10, v10, v24
	s_wait_alu 0xfffd
	v_cndmask_b32_e32 v6, v22, v6, vcc_lo
	v_and_b32_e32 v16, 0xffff, v16
	v_cmp_lt_i32_e32 vcc_lo, 5, v17
	v_cmp_ne_u32_e64 s0, v10, v26
	s_delay_alu instid0(VALU_DEP_4)
	v_and_or_b32 v18, 0x8000, v7, v6
	v_lshrrev_b32_e32 v7, 2, v23
	v_add_nc_u32_e32 v10, 0xfffffc10, v19
	s_wait_alu 0xf1ff
	v_cndmask_b32_e64 v6, 0, 1, s0
	v_cmp_eq_u32_e64 s0, 3, v17
	s_wait_dscnt 0x0
	v_lshrrev_b32_e32 v19, 16, v14
	v_lshl_or_b32 v17, v10, 12, v0
	v_mul_f64_e32 v[2:3], s[8:9], v[2:3]
	v_or_b32_e32 v6, v24, v6
	s_or_b32 vcc_lo, s0, vcc_lo
	v_mul_f16_e32 v21, v25, v19
	s_wait_alu 0xfffe
	v_add_co_ci_u32_e32 v22, vcc_lo, 0, v7, vcc_lo
	v_cmp_gt_i32_e32 vcc_lo, 1, v10
	v_lshl_or_b32 v16, v18, 16, v16
	v_fmac_f16_e32 v21, v117, v14
	s_wait_alu 0xfffd
	v_cndmask_b32_e32 v17, v17, v6, vcc_lo
	v_and_or_b32 v6, 0x1ff, v13, v12
	v_cmp_ne_u32_e32 vcc_lo, 0, v8
	v_cvt_f32_f16_e32 v7, v21
	v_lshrrev_b32_e32 v23, 8, v13
	v_bfe_u32 v24, v13, 20, 11
	v_and_b32_e32 v12, 7, v17
	s_wait_alu 0xfffd
	v_cndmask_b32_e64 v8, 0, 1, vcc_lo
	v_cmp_ne_u32_e32 vcc_lo, 0, v6
	v_lshrrev_b32_e32 v17, 2, v17
	v_cvt_f64_f32_e32 v[6:7], v7
	v_cmp_eq_u32_e64 s0, 3, v12
	v_lshl_or_b32 v8, v8, 9, 0x7c00
	s_wait_alu 0xfffd
	v_cndmask_b32_e64 v21, 0, 1, vcc_lo
	v_cmp_gt_i32_e32 vcc_lo, 31, v20
	v_lshrrev_b32_e32 v13, 16, v13
	s_delay_alu instid0(VALU_DEP_3)
	v_and_or_b32 v21, 0xffe, v23, v21
	v_sub_nc_u32_e32 v23, 0x3f1, v24
	s_wait_alu 0xfffd
	v_cndmask_b32_e32 v22, 0x7c00, v22, vcc_lo
	v_cmp_lt_i32_e32 vcc_lo, 5, v12
	v_or_b32_e32 v12, 0x1000, v21
	v_med3_i32 v23, v23, 0, 13
	s_delay_alu instid0(VALU_DEP_4)
	v_cndmask_b32_e64 v8, v22, v8, s1
	s_or_b32 vcc_lo, s0, vcc_lo
	v_and_or_b32 v2, 0x1ff, v3, v2
	s_wait_alu 0xfffe
	v_add_co_ci_u32_e32 v17, vcc_lo, 0, v17, vcc_lo
	v_lshrrev_b32_e32 v20, v23, v12
	v_cmp_gt_i32_e32 vcc_lo, 31, v10
	v_and_or_b32 v22, 0x8000, v9, v8
	v_mul_f16_e32 v8, v25, v14
	s_wait_alu 0xfffd
	v_dual_cndmask_b32 v17, 0x7c00, v17 :: v_dual_lshlrev_b32 v18, v23, v20
	s_delay_alu instid0(VALU_DEP_2) | instskip(SKIP_1) | instid1(VALU_DEP_3)
	v_fma_f16 v8, v117, v19, -v8
	v_lshrrev_b32_e32 v19, 8, v3
	v_cmp_ne_u32_e32 vcc_lo, v18, v12
	v_add_nc_u32_e32 v12, 0xfffffc10, v24
	scratch_load_b32 v24, off, off offset:80 th:TH_LOAD_LU ; 4-byte Folded Reload
	v_cvt_f32_f16_e32 v8, v8
	s_wait_alu 0xfffd
	v_cndmask_b32_e64 v9, 0, 1, vcc_lo
	v_cmp_ne_u32_e32 vcc_lo, 0, v0
	v_lshl_or_b32 v18, v12, 12, v21
	v_mul_f64_e32 v[6:7], s[8:9], v[6:7]
	v_cmp_eq_u32_e64 s1, 0x40f, v12
	v_or_b32_e32 v14, v20, v9
	s_wait_alu 0xfffd
	v_cndmask_b32_e64 v0, 0, 1, vcc_lo
	v_cmp_ne_u32_e32 vcc_lo, 0, v2
	v_bfe_u32 v20, v3, 20, 11
	v_cvt_f64_f32_e32 v[8:9], v8
	v_lshrrev_b32_e32 v3, 16, v3
	v_lshl_or_b32 v0, v0, 9, 0x7c00
	s_wait_alu 0xfffd
	v_cndmask_b32_e64 v2, 0, 1, vcc_lo
	v_cmp_gt_i32_e32 vcc_lo, 1, v12
	s_delay_alu instid0(VALU_DEP_2)
	v_and_or_b32 v2, 0xffe, v19, v2
	s_wait_alu 0xfffd
	v_cndmask_b32_e32 v14, v18, v14, vcc_lo
	v_cmp_eq_u32_e32 vcc_lo, 0x40f, v10
	v_sub_nc_u32_e32 v18, 0x3f1, v20
	v_or_b32_e32 v23, 0x1000, v2
	s_wait_alu 0xfffd
	v_cndmask_b32_e32 v10, v17, v0, vcc_lo
	v_lshrrev_b32_e32 v17, 16, v1
	v_med3_i32 v18, v18, 0, 13
	v_add_co_u32 v0, vcc_lo, v4, s4
	s_wait_alu 0xfffd
	v_add_co_ci_u32_e32 v1, vcc_lo, s5, v5, vcc_lo
	v_and_or_b32 v4, 0x8000, v17, v10
	v_add_nc_u32_e32 v17, 0xfffffc10, v20
	v_and_b32_e32 v19, 7, v14
	v_and_b32_e32 v5, 0xffff, v22
	v_lshrrev_b32_e32 v10, v18, v23
	v_lshrrev_b32_e32 v14, 2, v14
	global_store_b32 v[0:1], v16, off
	v_cmp_lt_i32_e32 vcc_lo, 5, v19
	v_cmp_eq_u32_e64 s0, 3, v19
	v_lshl_or_b32 v16, v4, 16, v5
	v_lshlrev_b32_e32 v4, v18, v10
	v_lshl_or_b32 v20, v17, 12, v2
	v_and_or_b32 v6, 0x1ff, v7, v6
	s_or_b32 vcc_lo, s0, vcc_lo
	s_wait_alu 0xfffe
	v_add_co_ci_u32_e32 v5, vcc_lo, 0, v14, vcc_lo
	v_cmp_ne_u32_e32 vcc_lo, v4, v23
	scratch_load_b32 v23, off, off offset:60 th:TH_LOAD_LU ; 4-byte Folded Reload
	v_lshrrev_b32_e32 v14, 16, v11
	s_wait_alu 0xfffd
	v_cndmask_b32_e64 v4, 0, 1, vcc_lo
	v_cmp_gt_i32_e32 vcc_lo, 31, v12
	s_delay_alu instid0(VALU_DEP_2)
	v_or_b32_e32 v10, v10, v4
	s_wait_alu 0xfffd
	v_cndmask_b32_e32 v18, 0x7c00, v5, vcc_lo
	v_cmp_gt_i32_e32 vcc_lo, 1, v17
	v_mul_f64_e32 v[4:5], s[8:9], v[8:9]
	s_wait_alu 0xfffd
	v_cndmask_b32_e32 v10, v20, v10, vcc_lo
	v_cmp_ne_u32_e32 vcc_lo, 0, v6
	v_lshrrev_b32_e32 v20, 8, v7
	s_wait_alu 0xfffd
	v_cndmask_b32_e64 v6, 0, 1, vcc_lo
	v_cmp_ne_u32_e32 vcc_lo, 0, v21
	s_delay_alu instid0(VALU_DEP_2) | instskip(SKIP_2) | instid1(VALU_DEP_1)
	v_and_or_b32 v6, 0xffe, v20, v6
	s_wait_alu 0xfffd
	v_cndmask_b32_e64 v21, 0, 1, vcc_lo
	v_lshl_or_b32 v21, v21, 9, 0x7c00
	s_delay_alu instid0(VALU_DEP_1)
	v_cndmask_b32_e64 v12, v18, v21, s1
	scratch_load_b32 v21, off, off offset:72 th:TH_LOAD_LU ; 4-byte Folded Reload
	v_add_co_u32 v0, s1, v0, s2
	s_wait_alu 0xf1ff
	v_add_co_ci_u32_e64 v1, s1, s3, v1, s1
	v_and_or_b32 v12, 0x8000, v13, v12
	v_and_or_b32 v4, 0x1ff, v5, v4
	s_wait_loadcnt 0x2
	v_mul_f16_e32 v19, v24, v14
	s_wait_loadcnt 0x1
	s_delay_alu instid0(VALU_DEP_1) | instskip(SKIP_1) | instid1(VALU_DEP_2)
	v_fmac_f16_e32 v19, v23, v11
	v_mul_f16_e32 v11, v24, v11
	v_cvt_f32_f16_e32 v8, v19
	v_bfe_u32 v19, v7, 20, 11
	s_delay_alu instid0(VALU_DEP_3) | instskip(NEXT) | instid1(VALU_DEP_3)
	v_fma_f16 v11, v23, v14, -v11
	v_cvt_f64_f32_e32 v[8:9], v8
	s_delay_alu instid0(VALU_DEP_3) | instskip(SKIP_3) | instid1(VALU_DEP_4)
	v_sub_nc_u32_e32 v20, 0x3f1, v19
	v_add_nc_u32_e32 v19, 0xfffffc10, v19
	v_and_b32_e32 v22, 7, v10
	v_lshrrev_b32_e32 v10, 2, v10
	v_med3_i32 v20, v20, 0, 13
	s_delay_alu instid0(VALU_DEP_3) | instskip(SKIP_2) | instid1(VALU_DEP_2)
	v_cmp_lt_i32_e32 vcc_lo, 5, v22
	v_cmp_eq_u32_e64 s0, 3, v22
	v_or_b32_e32 v22, 0x1000, v6
	s_or_b32 vcc_lo, s0, vcc_lo
	s_delay_alu instid0(VALU_DEP_1) | instskip(SKIP_3) | instid1(VALU_DEP_3)
	v_lshrrev_b32_e32 v18, v20, v22
	s_wait_alu 0xfffe
	v_add_co_ci_u32_e32 v10, vcc_lo, 0, v10, vcc_lo
	v_cmp_ne_u32_e32 vcc_lo, 0, v2
	v_lshlrev_b32_e32 v20, v20, v18
	s_wait_alu 0xfffd
	v_cndmask_b32_e64 v2, 0, 1, vcc_lo
	v_cmp_gt_i32_e32 vcc_lo, 31, v17
	s_delay_alu instid0(VALU_DEP_2)
	v_lshl_or_b32 v2, v2, 9, 0x7c00
	s_wait_alu 0xfffd
	v_cndmask_b32_e32 v10, 0x7c00, v10, vcc_lo
	v_cmp_ne_u32_e32 vcc_lo, v20, v22
	scratch_load_b32 v22, off, off offset:68 th:TH_LOAD_LU ; 4-byte Folded Reload
	s_wait_alu 0xfffd
	v_cndmask_b32_e64 v20, 0, 1, vcc_lo
	v_cmp_eq_u32_e32 vcc_lo, 0x40f, v17
	v_lshl_or_b32 v17, v19, 12, v6
	v_mul_f64_e32 v[8:9], s[8:9], v[8:9]
	s_delay_alu instid0(VALU_DEP_4)
	v_or_b32_e32 v14, v18, v20
	s_wait_alu 0xfffd
	v_cndmask_b32_e32 v2, v10, v2, vcc_lo
	v_cmp_ne_u32_e32 vcc_lo, 0, v4
	v_cvt_f32_f16_e32 v10, v11
	v_lshrrev_b32_e32 v18, 8, v5
	v_bfe_u32 v20, v5, 20, 11
	v_and_or_b32 v2, 0x8000, v3, v2
	v_and_b32_e32 v3, 0xffff, v12
	s_wait_alu 0xfffd
	v_cndmask_b32_e64 v4, 0, 1, vcc_lo
	v_cmp_gt_i32_e32 vcc_lo, 1, v19
	v_cvt_f64_f32_e32 v[10:11], v10
	s_delay_alu instid0(VALU_DEP_3) | instskip(SKIP_3) | instid1(VALU_DEP_3)
	v_and_or_b32 v4, 0xffe, v18, v4
	s_wait_alu 0xfffd
	v_cndmask_b32_e32 v14, v17, v14, vcc_lo
	v_sub_nc_u32_e32 v17, 0x3f1, v20
	v_or_b32_e32 v18, 0x1000, v4
	s_delay_alu instid0(VALU_DEP_3) | instskip(NEXT) | instid1(VALU_DEP_3)
	v_and_b32_e32 v13, 7, v14
	v_med3_i32 v17, v17, 0, 13
	s_delay_alu instid0(VALU_DEP_2) | instskip(NEXT) | instid1(VALU_DEP_2)
	v_cmp_lt_i32_e32 vcc_lo, 5, v13
	v_lshrrev_b32_e32 v12, v17, v18
	v_cmp_eq_u32_e64 s0, 3, v13
	v_lshrrev_b32_e32 v13, 2, v14
	s_delay_alu instid0(VALU_DEP_3) | instskip(NEXT) | instid1(VALU_DEP_3)
	v_lshlrev_b32_e32 v14, v17, v12
	s_or_b32 vcc_lo, s0, vcc_lo
	v_lshl_or_b32 v17, v2, 16, v3
	s_wait_alu 0xfffe
	v_add_co_ci_u32_e32 v2, vcc_lo, 0, v13, vcc_lo
	v_add_nc_u32_e32 v13, 0xfffffc10, v20
	v_cmp_ne_u32_e32 vcc_lo, v14, v18
	v_lshrrev_b32_e32 v20, 16, v15
	v_and_or_b32 v8, 0x1ff, v9, v8
	s_delay_alu instid0(VALU_DEP_4) | instskip(SKIP_3) | instid1(VALU_DEP_2)
	v_lshl_or_b32 v18, v13, 12, v4
	s_wait_alu 0xfffd
	v_cndmask_b32_e64 v3, 0, 1, vcc_lo
	v_cmp_ne_u32_e32 vcc_lo, 0, v6
	v_or_b32_e32 v12, v12, v3
	s_wait_alu 0xfffd
	v_cndmask_b32_e64 v6, 0, 1, vcc_lo
	v_cmp_gt_i32_e32 vcc_lo, 31, v19
	s_delay_alu instid0(VALU_DEP_2)
	v_lshl_or_b32 v6, v6, 9, 0x7c00
	s_wait_alu 0xfffd
	v_cndmask_b32_e32 v14, 0x7c00, v2, vcc_lo
	v_cmp_gt_i32_e32 vcc_lo, 1, v13
	v_mul_f64_e32 v[2:3], s[8:9], v[10:11]
	s_wait_loadcnt 0x1
	v_mul_f16_e32 v11, v21, v20
	s_wait_alu 0xfffd
	v_cndmask_b32_e32 v10, v18, v12, vcc_lo
	v_cmp_eq_u32_e32 vcc_lo, 0x40f, v19
	v_bfe_u32 v18, v9, 20, 11
	v_lshrrev_b32_e32 v19, 16, v7
	s_wait_alu 0xfffd
	v_cndmask_b32_e32 v12, v14, v6, vcc_lo
	v_cmp_ne_u32_e32 vcc_lo, 0, v8
	v_and_b32_e32 v6, 7, v10
	v_lshrrev_b32_e32 v14, 8, v9
	v_lshrrev_b32_e32 v10, 2, v10
	s_wait_alu 0xfffd
	v_cndmask_b32_e64 v8, 0, 1, vcc_lo
	v_cmp_lt_i32_e32 vcc_lo, 5, v6
	v_cmp_eq_u32_e64 s0, 3, v6
	s_delay_alu instid0(VALU_DEP_3) | instskip(NEXT) | instid1(VALU_DEP_2)
	v_and_or_b32 v8, 0xffe, v14, v8
	s_or_b32 vcc_lo, s0, vcc_lo
	s_wait_alu 0xfffe
	v_add_co_ci_u32_e32 v10, vcc_lo, 0, v10, vcc_lo
	s_delay_alu instid0(VALU_DEP_2) | instskip(SKIP_4) | instid1(VALU_DEP_2)
	v_or_b32_e32 v14, 0x1000, v8
	v_cmp_ne_u32_e32 vcc_lo, 0, v4
	s_wait_alu 0xfffd
	v_cndmask_b32_e64 v4, 0, 1, vcc_lo
	v_cmp_gt_i32_e32 vcc_lo, 31, v13
	v_lshl_or_b32 v4, v4, 9, 0x7c00
	s_wait_alu 0xfffd
	v_cndmask_b32_e32 v10, 0x7c00, v10, vcc_lo
	v_cmp_eq_u32_e32 vcc_lo, 0x40f, v13
	v_add_nc_u32_e32 v13, 0x600, v93
	v_and_or_b32 v19, 0x8000, v19, v12
	v_and_or_b32 v2, 0x1ff, v3, v2
	s_delay_alu instid0(VALU_DEP_2) | instskip(SKIP_3) | instid1(VALU_DEP_2)
	v_and_b32_e32 v19, 0xffff, v19
	s_wait_loadcnt 0x0
	v_fmac_f16_e32 v11, v22, v15
	v_mul_f16_e32 v15, v21, v15
	v_cvt_f32_f16_e32 v7, v11
	v_sub_nc_u32_e32 v11, 0x3f1, v18
	s_delay_alu instid0(VALU_DEP_3)
	v_fma_f16 v15, v22, v20, -v15
	s_wait_alu 0xfffd
	v_cndmask_b32_e32 v20, v10, v4, vcc_lo
	v_cvt_f64_f32_e32 v[6:7], v7
	v_med3_i32 v11, v11, 0, 13
	v_cvt_f32_f16_e32 v12, v15
	s_delay_alu instid0(VALU_DEP_2) | instskip(NEXT) | instid1(VALU_DEP_1)
	v_lshrrev_b32_e32 v21, v11, v14
	v_lshlrev_b32_e32 v15, v11, v21
	s_delay_alu instid0(VALU_DEP_3) | instskip(SKIP_1) | instid1(VALU_DEP_3)
	v_cvt_f64_f32_e32 v[10:11], v12
	v_lshrrev_b32_e32 v12, 8, v3
	v_cmp_ne_u32_e32 vcc_lo, v15, v14
	v_bfe_u32 v15, v3, 20, 11
	v_add_nc_u32_e32 v14, 0xfffffc10, v18
	v_lshrrev_b32_e32 v18, 16, v5
	s_wait_alu 0xfffd
	v_cndmask_b32_e64 v4, 0, 1, vcc_lo
	v_cmp_ne_u32_e32 vcc_lo, 0, v2
	v_lshl_or_b32 v5, v14, 12, v8
	v_and_or_b32 v18, 0x8000, v18, v20
	s_delay_alu instid0(VALU_DEP_4) | instskip(SKIP_3) | instid1(VALU_DEP_2)
	v_or_b32_e32 v4, v21, v4
	s_wait_alu 0xfffd
	v_cndmask_b32_e64 v2, 0, 1, vcc_lo
	v_cmp_gt_i32_e32 vcc_lo, 1, v14
	v_and_or_b32 v2, 0xffe, v12, v2
	v_sub_nc_u32_e32 v12, 0x3f1, v15
	s_wait_alu 0xfffd
	v_cndmask_b32_e32 v21, v5, v4, vcc_lo
	v_add_nc_u32_e32 v15, 0xfffffc10, v15
	v_or_b32_e32 v22, 0x1000, v2
	v_med3_i32 v23, v12, 0, 13
	v_add_co_u32 v12, vcc_lo, v0, s4
	v_mul_f64_e32 v[4:5], s[8:9], v[6:7]
	ds_load_2addr_b32 v[6:7], v13 offset0:120 offset1:183
	v_lshrrev_b32_e32 v20, v23, v22
	s_wait_alu 0xfffd
	v_add_co_ci_u32_e32 v13, vcc_lo, s5, v1, vcc_lo
	global_store_b32 v[0:1], v16, off
	global_store_b32 v[12:13], v17, off
	v_lshlrev_b32_e32 v0, v23, v20
	s_clause 0x2
	scratch_load_b32 v23, off, off offset:56 th:TH_LOAD_LU
	scratch_load_b32 v26, off, off offset:52 th:TH_LOAD_LU
	;; [unrolled: 1-line block ×3, first 2 shown]
	v_and_b32_e32 v24, 7, v21
	v_cmp_ne_u32_e64 s1, v0, v22
	scratch_load_b32 v22, off, off offset:64 th:TH_LOAD_LU ; 4-byte Folded Reload
	v_lshrrev_b32_e32 v17, 2, v21
	v_mul_f64_e32 v[0:1], s[8:9], v[10:11]
	v_cmp_lt_i32_e32 vcc_lo, 5, v24
	v_cmp_eq_u32_e64 s0, 3, v24
	v_lshl_or_b32 v16, v18, 16, v19
	s_wait_alu 0xf1ff
	v_cndmask_b32_e64 v18, 0, 1, s1
	s_wait_dscnt 0x0
	v_lshrrev_b32_e32 v10, 16, v6
	s_or_b32 vcc_lo, s0, vcc_lo
	s_wait_alu 0xfffe
	v_add_co_ci_u32_e32 v11, vcc_lo, 0, v17, vcc_lo
	v_cmp_ne_u32_e32 vcc_lo, 0, v8
	v_or_b32_e32 v17, v20, v18
	v_lshl_or_b32 v18, v15, 12, v2
	s_wait_alu 0xfffd
	v_cndmask_b32_e64 v8, 0, 1, vcc_lo
	v_cmp_gt_i32_e32 vcc_lo, 1, v15
	s_delay_alu instid0(VALU_DEP_2)
	v_lshl_or_b32 v8, v8, 9, 0x7c00
	s_wait_alu 0xfffd
	v_cndmask_b32_e32 v17, v18, v17, vcc_lo
	v_cmp_gt_i32_e32 vcc_lo, 31, v14
	v_and_or_b32 v4, 0x1ff, v5, v4
	v_bfe_u32 v20, v5, 20, 11
	s_wait_alu 0xfffd
	v_dual_cndmask_b32 v11, 0x7c00, v11 :: v_dual_and_b32 v18, 7, v17
	v_cmp_eq_u32_e32 vcc_lo, 0x40f, v14
	v_lshrrev_b32_e32 v14, 16, v9
	v_cmp_ne_u32_e64 s0, 0, v4
	s_wait_alu 0xfffd
	v_cndmask_b32_e32 v11, v11, v8, vcc_lo
	v_cmp_lt_i32_e32 vcc_lo, 5, v18
	s_wait_alu 0xf1ff
	v_cndmask_b32_e64 v4, 0, 1, s0
	v_cmp_eq_u32_e64 s0, 3, v18
	v_and_or_b32 v0, 0x1ff, v1, v0
	v_and_or_b32 v18, 0x8000, v14, v11
	v_lshrrev_b32_e32 v11, 2, v17
	v_sub_nc_u32_e32 v14, 0x3f1, v20
	s_or_b32 vcc_lo, s0, vcc_lo
	s_wait_alu 0xfffe
	s_delay_alu instid0(VALU_DEP_2) | instskip(SKIP_4) | instid1(VALU_DEP_1)
	v_add_co_ci_u32_e32 v11, vcc_lo, 0, v11, vcc_lo
	v_cmp_gt_i32_e32 vcc_lo, 31, v15
	v_med3_i32 v14, v14, 0, 13
	s_wait_loadcnt 0x0
	v_mul_f16_e32 v19, v22, v10
	v_fmac_f16_e32 v19, v23, v6
	v_mul_f16_e32 v6, v22, v6
	v_bfe_u32 v22, v1, 20, 11
	s_delay_alu instid0(VALU_DEP_3) | instskip(NEXT) | instid1(VALU_DEP_3)
	v_cvt_f32_f16_e32 v19, v19
	v_fma_f16 v6, v23, v10, -v6
	s_delay_alu instid0(VALU_DEP_3) | instskip(NEXT) | instid1(VALU_DEP_3)
	v_sub_nc_u32_e32 v10, 0x3f1, v22
	v_cvt_f64_f32_e32 v[8:9], v19
	v_lshrrev_b32_e32 v19, 8, v5
	s_delay_alu instid0(VALU_DEP_3) | instskip(SKIP_2) | instid1(VALU_DEP_4)
	v_med3_i32 v23, v10, 0, 13
	v_cvt_f32_f16_e32 v6, v6
	v_lshrrev_b32_e32 v5, 16, v5
	v_and_or_b32 v4, 0xffe, v19, v4
	s_wait_alu 0xfffd
	v_cndmask_b32_e32 v19, 0x7c00, v11, vcc_lo
	v_cmp_ne_u32_e32 vcc_lo, 0, v2
	v_lshrrev_b32_e32 v11, 8, v1
	v_or_b32_e32 v17, 0x1000, v4
	s_wait_alu 0xfffd
	v_cndmask_b32_e64 v2, 0, 1, vcc_lo
	v_cmp_ne_u32_e32 vcc_lo, 0, v0
	s_delay_alu instid0(VALU_DEP_3) | instskip(NEXT) | instid1(VALU_DEP_3)
	v_lshrrev_b32_e32 v21, v14, v17
	v_lshl_or_b32 v2, v2, 9, 0x7c00
	s_wait_alu 0xfffd
	v_cndmask_b32_e64 v0, 0, 1, vcc_lo
	s_delay_alu instid0(VALU_DEP_3) | instskip(NEXT) | instid1(VALU_DEP_2)
	v_lshlrev_b32_e32 v14, v14, v21
	v_and_or_b32 v0, 0xffe, v11, v0
	v_cvt_f64_f32_e32 v[10:11], v6
	s_delay_alu instid0(VALU_DEP_3)
	v_cmp_ne_u32_e32 vcc_lo, v14, v17
	v_add_nc_u32_e32 v17, 0xfffffc10, v20
	v_add_nc_u32_e32 v6, 0x1200, v93
	v_or_b32_e32 v20, 0x1000, v0
	s_wait_alu 0xfffd
	v_cndmask_b32_e64 v14, 0, 1, vcc_lo
	v_cmp_eq_u32_e32 vcc_lo, 0x40f, v15
	s_delay_alu instid0(VALU_DEP_3)
	v_lshrrev_b32_e32 v24, v23, v20
	s_wait_alu 0xfffd
	v_cndmask_b32_e32 v19, v19, v2, vcc_lo
	v_mul_f64_e32 v[8:9], s[8:9], v[8:9]
	v_or_b32_e32 v2, v21, v14
	v_lshl_or_b32 v21, v17, 12, v4
	v_cmp_gt_i32_e32 vcc_lo, 1, v17
	v_lshlrev_b32_e32 v23, v23, v24
	ds_load_2addr_b32 v[14:15], v6 offset0:108 offset1:171
	v_lshrrev_b32_e32 v6, 16, v3
	s_wait_alu 0xfffd
	v_cndmask_b32_e32 v21, v21, v2, vcc_lo
	v_add_co_u32 v2, vcc_lo, v12, s2
	s_wait_alu 0xfffd
	v_add_co_ci_u32_e32 v3, vcc_lo, s3, v13, vcc_lo
	s_delay_alu instid0(VALU_DEP_3)
	v_and_b32_e32 v12, 7, v21
	v_cmp_ne_u32_e32 vcc_lo, v23, v20
	v_and_b32_e32 v13, 0xffff, v18
	v_and_or_b32 v6, 0x8000, v6, v19
	v_add_nc_u32_e32 v19, 0xfffffc10, v22
	v_cmp_eq_u32_e64 s0, 3, v12
	s_wait_alu 0xfffd
	v_cndmask_b32_e64 v18, 0, 1, vcc_lo
	v_cmp_lt_i32_e32 vcc_lo, 5, v12
	v_lshrrev_b32_e32 v12, 2, v21
	v_lshl_or_b32 v20, v19, 12, v0
	s_delay_alu instid0(VALU_DEP_4)
	v_or_b32_e32 v18, v24, v18
	s_or_b32 vcc_lo, s0, vcc_lo
	s_wait_dscnt 0x0
	v_lshrrev_b32_e32 v21, 16, v14
	s_wait_alu 0xfffe
	v_add_co_ci_u32_e32 v12, vcc_lo, 0, v12, vcc_lo
	v_cmp_gt_i32_e32 vcc_lo, 1, v19
	v_mul_f64_e32 v[10:11], s[8:9], v[10:11]
	s_wait_alu 0xfffd
	v_cndmask_b32_e32 v18, v20, v18, vcc_lo
	v_cmp_gt_i32_e32 vcc_lo, 31, v17
	v_mul_f16_e32 v20, v26, v21
	v_and_or_b32 v8, 0x1ff, v9, v8
	s_wait_alu 0xfffd
	v_dual_cndmask_b32 v22, 0x7c00, v12 :: v_dual_and_b32 v23, 7, v18
	v_cmp_ne_u32_e32 vcc_lo, 0, v4
	v_lshrrev_b32_e32 v18, 2, v18
	v_cmp_ne_u32_e64 s0, 0, v8
	v_fmac_f16_e32 v20, v25, v14
	v_bfe_u32 v24, v9, 20, 11
	s_wait_alu 0xfffd
	v_cndmask_b32_e64 v4, 0, 1, vcc_lo
	v_cmp_lt_i32_e32 vcc_lo, 5, v23
	s_wait_alu 0xf1ff
	v_cndmask_b32_e64 v8, 0, 1, s0
	v_cmp_eq_u32_e64 s0, 3, v23
	v_cvt_f32_f16_e32 v12, v20
	v_lshl_or_b32 v4, v4, 9, 0x7c00
	v_lshrrev_b32_e32 v20, 8, v9
	v_mul_f16_e32 v14, v26, v14
	s_or_b32 vcc_lo, s0, vcc_lo
	v_lshrrev_b32_e32 v9, 16, v9
	s_wait_alu 0xfffe
	v_add_co_ci_u32_e32 v18, vcc_lo, 0, v18, vcc_lo
	v_cmp_ne_u32_e32 vcc_lo, 0, v0
	v_and_or_b32 v8, 0xffe, v20, v8
	v_sub_nc_u32_e32 v20, 0x3f1, v24
	s_wait_alu 0xfffd
	v_cndmask_b32_e64 v0, 0, 1, vcc_lo
	v_cmp_gt_i32_e32 vcc_lo, 31, v19
	v_or_b32_e32 v23, 0x1000, v8
	v_med3_i32 v20, v20, 0, 13
	s_delay_alu instid0(VALU_DEP_4)
	v_lshl_or_b32 v0, v0, 9, 0x7c00
	s_wait_alu 0xfffd
	v_cndmask_b32_e32 v18, 0x7c00, v18, vcc_lo
	v_cmp_eq_u32_e32 vcc_lo, 0x40f, v17
	v_lshrrev_b32_e32 v17, v20, v23
	s_wait_alu 0xfffd
	v_cndmask_b32_e32 v4, v22, v4, vcc_lo
	v_lshl_or_b32 v6, v6, 16, v13
	v_cvt_f64_f32_e32 v[12:13], v12
	v_cmp_eq_u32_e32 vcc_lo, 0x40f, v19
	v_lshlrev_b32_e32 v20, v20, v17
	v_lshrrev_b32_e32 v19, 16, v1
	v_and_or_b32 v22, 0x8000, v5, v4
	v_and_or_b32 v4, 0x1ff, v11, v10
	s_wait_alu 0xfffd
	v_cndmask_b32_e32 v18, v18, v0, vcc_lo
	v_add_co_u32 v0, vcc_lo, v2, s4
	s_wait_alu 0xfffd
	v_add_co_ci_u32_e32 v1, vcc_lo, s5, v3, vcc_lo
	v_cmp_ne_u32_e32 vcc_lo, v20, v23
	global_store_b32 v[2:3], v16, off
	global_store_b32 v[0:1], v6, off
	v_and_or_b32 v18, 0x8000, v19, v18
	v_and_b32_e32 v22, 0xffff, v22
	s_wait_alu 0xfffd
	v_cndmask_b32_e64 v10, 0, 1, vcc_lo
	v_cmp_ne_u32_e32 vcc_lo, 0, v4
	v_add_co_u32 v0, s1, v0, s2
	v_lshl_or_b32 v16, v18, 16, v22
	s_delay_alu instid0(VALU_DEP_4)
	v_or_b32_e32 v10, v17, v10
	v_add_nc_u32_e32 v19, 0xfffffc10, v24
	scratch_load_b32 v24, off, off offset:40 th:TH_LOAD_LU ; 4-byte Folded Reload
	s_wait_alu 0xfffd
	v_cndmask_b32_e64 v20, 0, 1, vcc_lo
	s_wait_alu 0xf1ff
	v_add_co_ci_u32_e64 v1, s1, s3, v1, s1
	v_lshl_or_b32 v17, v19, 12, v8
	v_cmp_gt_i32_e32 vcc_lo, 1, v19
	s_clause 0x1
	scratch_load_b32 v26, off, off offset:20 th:TH_LOAD_LU
	scratch_load_b32 v27, off, off offset:12 th:TH_LOAD_LU
	global_store_b32 v[0:1], v16, off
	v_lshrrev_b32_e32 v16, 16, v15
	s_wait_alu 0xfffd
	v_cndmask_b32_e32 v10, v17, v10, vcc_lo
	v_add_co_u32 v0, s1, v0, s4
	s_wait_alu 0xf1ff
	v_add_co_ci_u32_e64 v1, s1, s5, v1, s1
	v_mul_f64_e32 v[4:5], s[8:9], v[12:13]
	v_fma_f16 v12, v25, v21, -v14
	scratch_load_b32 v25, off, off offset:44 th:TH_LOAD_LU ; 4-byte Folded Reload
	v_lshrrev_b32_e32 v13, 8, v11
	v_bfe_u32 v14, v11, 20, 11
	v_and_b32_e32 v23, 7, v10
	v_lshrrev_b32_e32 v3, 2, v10
	v_cvt_f32_f16_e32 v12, v12
	v_and_or_b32 v20, 0xffe, v13, v20
	v_sub_nc_u32_e32 v21, 0x3f1, v14
	v_cmp_lt_i32_e32 vcc_lo, 5, v23
	v_cmp_eq_u32_e64 s0, 3, v23
	v_add_nc_u32_e32 v10, 0xfffffc10, v14
	v_or_b32_e32 v17, 0x1000, v20
	v_med3_i32 v21, v21, 0, 13
	v_lshrrev_b32_e32 v14, 16, v7
	s_or_b32 vcc_lo, s0, vcc_lo
	v_cvt_f64_f32_e32 v[12:13], v12
	s_wait_alu 0xfffe
	v_add_co_ci_u32_e32 v3, vcc_lo, 0, v3, vcc_lo
	v_lshrrev_b32_e32 v2, v21, v17
	v_lshrrev_b32_e32 v11, 16, v11
	s_delay_alu instid0(VALU_DEP_2) | instskip(NEXT) | instid1(VALU_DEP_1)
	v_lshlrev_b32_e32 v6, v21, v2
	v_cmp_ne_u32_e32 vcc_lo, v6, v17
	s_wait_alu 0xfffd
	v_cndmask_b32_e64 v6, 0, 1, vcc_lo
	v_cmp_gt_i32_e32 vcc_lo, 31, v19
	v_and_or_b32 v4, 0x1ff, v5, v4
	v_lshrrev_b32_e32 v21, 8, v5
	s_delay_alu instid0(VALU_DEP_4)
	v_or_b32_e32 v2, v2, v6
	s_wait_alu 0xfffd
	v_cndmask_b32_e32 v17, 0x7c00, v3, vcc_lo
	v_cmp_ne_u32_e32 vcc_lo, 0, v8
	v_lshl_or_b32 v3, v10, 12, v20
	v_bfe_u32 v22, v5, 20, 11
	s_wait_alu 0xfffd
	v_cndmask_b32_e64 v8, 0, 1, vcc_lo
	v_cmp_gt_i32_e32 vcc_lo, 1, v10
	s_delay_alu instid0(VALU_DEP_2) | instskip(SKIP_4) | instid1(VALU_DEP_3)
	v_lshl_or_b32 v8, v8, 9, 0x7c00
	s_wait_alu 0xfffd
	v_cndmask_b32_e32 v18, v3, v2, vcc_lo
	v_cmp_ne_u32_e32 vcc_lo, 0, v4
	v_mul_f64_e32 v[2:3], s[8:9], v[12:13]
	v_and_b32_e32 v23, 7, v18
	s_wait_alu 0xfffd
	v_cndmask_b32_e64 v4, 0, 1, vcc_lo
	v_cmp_eq_u32_e32 vcc_lo, 0x40f, v19
	v_lshrrev_b32_e32 v18, 2, v18
	v_cmp_eq_u32_e64 s0, 3, v23
	s_delay_alu instid0(VALU_DEP_4)
	v_and_or_b32 v4, 0xffe, v21, v4
	s_wait_alu 0xfffd
	v_cndmask_b32_e32 v8, v17, v8, vcc_lo
	v_cmp_lt_i32_e32 vcc_lo, 5, v23
	v_sub_nc_u32_e32 v21, 0x3f1, v22
	s_or_b32 vcc_lo, s0, vcc_lo
	s_delay_alu instid0(VALU_DEP_1) | instskip(SKIP_4) | instid1(VALU_DEP_1)
	v_med3_i32 v17, v21, 0, 13
	scratch_load_b32 v21, off, off offset:28 th:TH_LOAD_LU ; 4-byte Folded Reload
	v_and_or_b32 v2, 0x1ff, v3, v2
	s_wait_loadcnt 0x1
	v_mul_f16_e32 v6, v25, v14
	v_fmac_f16_e32 v6, v24, v7
	v_mul_f16_e32 v7, v25, v7
	scratch_load_b32 v25, off, off offset:32 th:TH_LOAD_LU ; 4-byte Folded Reload
	v_cvt_f32_f16_e32 v6, v6
	v_fma_f16 v7, v24, v14, -v7
	s_wait_alu 0xfffe
	v_add_co_ci_u32_e32 v14, vcc_lo, 0, v18, vcc_lo
	v_cmp_ne_u32_e32 vcc_lo, 0, v20
	v_add_nc_u32_e32 v20, 0xfffffc10, v22
	s_clause 0x1
	scratch_load_b32 v22, off, off offset:36 th:TH_LOAD_LU
	scratch_load_b32 v24, off, off offset:24 th:TH_LOAD_LU
	v_cvt_f64_f32_e32 v[12:13], v6
	v_or_b32_e32 v6, 0x1000, v4
	s_wait_alu 0xfffd
	v_cndmask_b32_e64 v18, 0, 1, vcc_lo
	v_cmp_gt_i32_e32 vcc_lo, 31, v10
	v_cvt_f32_f16_e32 v7, v7
	v_lshrrev_b32_e32 v19, v17, v6
	s_delay_alu instid0(VALU_DEP_4) | instskip(SKIP_1) | instid1(VALU_DEP_2)
	v_lshl_or_b32 v18, v18, 9, 0x7c00
	s_wait_alu 0xfffd
	v_dual_cndmask_b32 v14, 0x7c00, v14 :: v_dual_lshlrev_b32 v17, v17, v19
	s_delay_alu instid0(VALU_DEP_1)
	v_cmp_ne_u32_e32 vcc_lo, v17, v6
	v_cvt_f64_f32_e32 v[6:7], v7
	s_wait_alu 0xfffd
	v_cndmask_b32_e64 v17, 0, 1, vcc_lo
	v_cmp_eq_u32_e32 vcc_lo, 0x40f, v10
	s_wait_alu 0xfffd
	v_cndmask_b32_e32 v10, v14, v18, vcc_lo
	s_delay_alu instid0(VALU_DEP_3)
	v_or_b32_e32 v14, v19, v17
	v_lshl_or_b32 v17, v20, 12, v4
	v_cmp_gt_i32_e32 vcc_lo, 1, v20
	v_and_or_b32 v18, 0x8000, v9, v8
	v_and_or_b32 v10, 0x8000, v11, v10
	s_wait_alu 0xfffd
	v_cndmask_b32_e32 v11, v17, v14, vcc_lo
	v_cmp_ne_u32_e32 vcc_lo, 0, v2
	v_and_b32_e32 v14, 0xffff, v18
	v_mul_f64_e32 v[8:9], s[8:9], v[12:13]
	v_lshrrev_b32_e32 v12, 8, v3
	v_bfe_u32 v13, v3, 20, 11
	s_wait_alu 0xfffd
	v_cndmask_b32_e64 v2, 0, 1, vcc_lo
	v_and_b32_e32 v17, 7, v11
	v_lshl_or_b32 v10, v10, 16, v14
	v_lshrrev_b32_e32 v11, 2, v11
	s_delay_alu instid0(VALU_DEP_4)
	v_and_or_b32 v2, 0xffe, v12, v2
	v_sub_nc_u32_e32 v12, 0x3f1, v13
	v_cmp_lt_i32_e32 vcc_lo, 5, v17
	v_cmp_eq_u32_e64 s0, 3, v17
	global_store_b32 v[0:1], v10, off
	v_or_b32_e32 v14, 0x1000, v2
	v_med3_i32 v12, v12, 0, 13
	s_or_b32 vcc_lo, s0, vcc_lo
	v_mul_f64_e32 v[6:7], s[8:9], v[6:7]
	s_wait_alu 0xfffe
	v_add_co_ci_u32_e32 v11, vcc_lo, 0, v11, vcc_lo
	v_lshrrev_b32_e32 v17, v12, v14
	v_cmp_gt_i32_e32 vcc_lo, 31, v20
	s_wait_alu 0xfffd
	s_delay_alu instid0(VALU_DEP_2) | instskip(NEXT) | instid1(VALU_DEP_1)
	v_dual_cndmask_b32 v19, 0x7c00, v11 :: v_dual_lshlrev_b32 v12, v12, v17
	v_cmp_ne_u32_e32 vcc_lo, v12, v14
	v_add_nc_u32_e32 v12, 0xfffffc10, v13
	s_wait_alu 0xfffd
	v_cndmask_b32_e64 v10, 0, 1, vcc_lo
	v_cmp_ne_u32_e32 vcc_lo, 0, v4
	s_delay_alu instid0(VALU_DEP_3) | instskip(SKIP_1) | instid1(VALU_DEP_4)
	v_lshl_or_b32 v14, v12, 12, v2
	v_and_or_b32 v8, 0x1ff, v9, v8
	v_or_b32_e32 v13, v17, v10
	s_wait_alu 0xfffd
	v_cndmask_b32_e64 v4, 0, 1, vcc_lo
	v_cmp_gt_i32_e32 vcc_lo, 1, v12
	v_bfe_u32 v17, v9, 20, 11
	s_delay_alu instid0(VALU_DEP_3)
	v_lshl_or_b32 v4, v4, 9, 0x7c00
	s_wait_alu 0xfffd
	v_cndmask_b32_e32 v13, v14, v13, vcc_lo
	v_cmp_ne_u32_e32 vcc_lo, 0, v8
	v_lshrrev_b32_e32 v14, 8, v9
	v_lshrrev_b32_e32 v9, 16, v9
	s_wait_alu 0xfffd
	v_cndmask_b32_e64 v8, 0, 1, vcc_lo
	v_cmp_eq_u32_e32 vcc_lo, 0x40f, v20
	s_delay_alu instid0(VALU_DEP_2)
	v_and_or_b32 v8, 0xffe, v14, v8
	s_wait_alu 0xfffd
	v_cndmask_b32_e32 v19, v19, v4, vcc_lo
	v_sub_nc_u32_e32 v4, 0x3f1, v17
	v_add_nc_u32_e32 v17, 0xfffffc10, v17
	v_or_b32_e32 v14, 0x1000, v8
	s_delay_alu instid0(VALU_DEP_3) | instskip(NEXT) | instid1(VALU_DEP_1)
	v_med3_i32 v4, v4, 0, 13
	v_lshrrev_b32_e32 v20, v4, v14
	s_delay_alu instid0(VALU_DEP_1) | instskip(SKIP_2) | instid1(VALU_DEP_1)
	v_lshlrev_b32_e32 v4, v4, v20
	s_wait_loadcnt 0x1
	v_mul_f16_e32 v18, v22, v16
	v_fmac_f16_e32 v18, v21, v15
	s_delay_alu instid0(VALU_DEP_1) | instskip(SKIP_2) | instid1(VALU_DEP_3)
	v_cvt_f32_f16_e32 v11, v18
	v_and_b32_e32 v18, 7, v13
	v_lshrrev_b32_e32 v13, 2, v13
	v_cvt_f64_f32_e32 v[10:11], v11
	s_delay_alu instid0(VALU_DEP_3)
	v_cmp_lt_i32_e32 vcc_lo, 5, v18
	v_cmp_eq_u32_e64 s0, 3, v18
	v_lshrrev_b32_e32 v18, 16, v5
	v_and_or_b32 v5, 0x1ff, v7, v6
	v_mul_f16_e32 v6, v22, v15
	v_lshrrev_b32_e32 v15, 8, v7
	s_or_b32 vcc_lo, s0, vcc_lo
	v_add_nc_u32_e32 v22, 0x800, v93
	s_wait_alu 0xfffe
	v_add_co_ci_u32_e32 v13, vcc_lo, 0, v13, vcc_lo
	v_cmp_ne_u32_e32 vcc_lo, 0, v2
	v_fma_f16 v6, v21, v16, -v6
	v_bfe_u32 v16, v7, 20, 11
	v_and_or_b32 v18, 0x8000, v18, v19
	s_wait_alu 0xfffd
	v_cndmask_b32_e64 v2, 0, 1, vcc_lo
	v_cmp_ne_u32_e32 vcc_lo, 0, v5
	v_cvt_f32_f16_e32 v6, v6
	v_sub_nc_u32_e32 v21, 0x3f1, v16
	v_add_nc_u32_e32 v16, 0xfffffc10, v16
	v_lshl_or_b32 v2, v2, 9, 0x7c00
	s_wait_alu 0xfffd
	v_cndmask_b32_e64 v5, 0, 1, vcc_lo
	v_cmp_ne_u32_e32 vcc_lo, v4, v14
	v_med3_i32 v21, v21, 0, 13
	v_and_b32_e32 v18, 0xffff, v18
	s_delay_alu instid0(VALU_DEP_4)
	v_and_or_b32 v15, 0xffe, v15, v5
	s_wait_alu 0xfffd
	v_cndmask_b32_e64 v14, 0, 1, vcc_lo
	v_cmp_gt_i32_e32 vcc_lo, 31, v12
	s_wait_alu 0xfffd
	v_cndmask_b32_e32 v13, 0x7c00, v13, vcc_lo
	v_cmp_gt_i32_e32 vcc_lo, 1, v17
	v_mul_f64_e32 v[4:5], s[8:9], v[10:11]
	v_cvt_f64_f32_e32 v[10:11], v6
	v_or_b32_e32 v6, v20, v14
	v_lshl_or_b32 v14, v17, 12, v8
	v_or_b32_e32 v20, 0x1000, v15
	s_wait_alu 0xfffd
	s_delay_alu instid0(VALU_DEP_2) | instskip(NEXT) | instid1(VALU_DEP_2)
	v_cndmask_b32_e32 v6, v14, v6, vcc_lo
	v_lshrrev_b32_e32 v14, v21, v20
	v_cmp_eq_u32_e32 vcc_lo, 0x40f, v12
	s_delay_alu instid0(VALU_DEP_3) | instskip(NEXT) | instid1(VALU_DEP_3)
	v_and_b32_e32 v23, 7, v6
	v_lshlrev_b32_e32 v21, v21, v14
	s_wait_alu 0xfffd
	v_cndmask_b32_e32 v12, v13, v2, vcc_lo
	v_lshrrev_b32_e32 v13, 16, v3
	ds_load_2addr_b32 v[2:3], v22 offset0:118 offset1:181
	v_cmp_lt_i32_e32 vcc_lo, 5, v23
	v_cmp_ne_u32_e64 s0, v21, v20
	v_lshrrev_b32_e32 v6, 2, v6
	v_and_or_b32 v19, 0x8000, v13, v12
	v_lshl_or_b32 v13, v16, 12, v15
	s_wait_alu 0xf1ff
	v_cndmask_b32_e64 v12, 0, 1, s0
	v_cmp_eq_u32_e64 s0, 3, v23
	v_lshl_or_b32 v18, v19, 16, v18
	s_delay_alu instid0(VALU_DEP_3) | instskip(NEXT) | instid1(VALU_DEP_3)
	v_or_b32_e32 v12, v14, v12
	s_or_b32 vcc_lo, s0, vcc_lo
	s_wait_alu 0xfffe
	v_add_co_ci_u32_e32 v6, vcc_lo, 0, v6, vcc_lo
	v_cmp_ne_u32_e32 vcc_lo, 0, v8
	s_wait_dscnt 0x0
	v_lshrrev_b32_e32 v14, 16, v2
	v_and_or_b32 v4, 0x1ff, v5, v4
	s_wait_alu 0xfffd
	v_cndmask_b32_e64 v8, 0, 1, vcc_lo
	v_cmp_gt_i32_e32 vcc_lo, 1, v16
	v_mul_f64_e32 v[10:11], s[8:9], v[10:11]
	v_lshrrev_b32_e32 v21, 8, v5
	v_bfe_u32 v22, v5, 20, 11
	v_lshl_or_b32 v8, v8, 9, 0x7c00
	s_wait_alu 0xfffd
	v_cndmask_b32_e32 v12, v13, v12, vcc_lo
	v_cmp_gt_i32_e32 vcc_lo, 31, v17
	v_mul_f16_e32 v13, v25, v14
	v_lshrrev_b32_e32 v5, 16, v5
	s_delay_alu instid0(VALU_DEP_4)
	v_and_b32_e32 v20, 7, v12
	s_wait_alu 0xfffd
	v_cndmask_b32_e32 v6, 0x7c00, v6, vcc_lo
	v_cmp_ne_u32_e32 vcc_lo, 0, v4
	s_wait_loadcnt 0x0
	v_fmac_f16_e32 v13, v24, v2
	v_mul_f16_e32 v2, v25, v2
	v_cmp_eq_u32_e64 s0, 3, v20
	s_wait_alu 0xfffd
	v_cndmask_b32_e64 v4, 0, 1, vcc_lo
	v_cmp_eq_u32_e32 vcc_lo, 0x40f, v17
	v_sub_nc_u32_e32 v17, 0x3f1, v22
	v_fma_f16 v2, v24, v14, -v2
	s_delay_alu instid0(VALU_DEP_4)
	v_and_or_b32 v4, 0xffe, v21, v4
	s_wait_alu 0xfffd
	v_cndmask_b32_e32 v6, v6, v8, vcc_lo
	v_cvt_f32_f16_e32 v8, v13
	v_cmp_lt_i32_e32 vcc_lo, 5, v20
	v_lshrrev_b32_e32 v20, 2, v12
	v_med3_i32 v17, v17, 0, 13
	v_and_or_b32 v23, 0x8000, v9, v6
	v_cvt_f64_f32_e32 v[12:13], v8
	s_or_b32 vcc_lo, s0, vcc_lo
	v_or_b32_e32 v8, 0x1000, v4
	s_wait_alu 0xfffe
	v_add_co_ci_u32_e32 v20, vcc_lo, 0, v20, vcc_lo
	v_cmp_ne_u32_e32 vcc_lo, 0, v15
	v_cvt_f32_f16_e32 v2, v2
	v_lshrrev_b32_e32 v21, v17, v8
	s_wait_alu 0xfffd
	v_cndmask_b32_e64 v15, 0, 1, vcc_lo
	v_cmp_gt_i32_e32 vcc_lo, 31, v16
	s_delay_alu instid0(VALU_DEP_3)
	v_lshlrev_b32_e32 v6, v17, v21
	v_lshrrev_b32_e32 v14, 8, v11
	v_bfe_u32 v17, v11, 20, 11
	v_lshl_or_b32 v15, v15, 9, 0x7c00
	s_wait_alu 0xfffd
	v_cndmask_b32_e32 v20, 0x7c00, v20, vcc_lo
	v_cmp_eq_u32_e32 vcc_lo, 0x40f, v16
	v_lshrrev_b32_e32 v16, 16, v7
	v_and_or_b32 v7, 0x1ff, v11, v10
	s_wait_alu 0xfffd
	v_dual_cndmask_b32 v15, v20, v15 :: v_dual_add_nc_u32 v10, 0xfffffc10, v22
	v_cmp_ne_u32_e32 vcc_lo, v6, v8
	v_add_nc_u32_e32 v20, 0x1400, v93
	s_delay_alu instid0(VALU_DEP_3)
	v_and_or_b32 v15, 0x8000, v16, v15
	s_wait_alu 0xfffd
	v_cndmask_b32_e64 v8, 0, 1, vcc_lo
	v_cmp_ne_u32_e32 vcc_lo, 0, v7
	v_cvt_f64_f32_e32 v[6:7], v2
	v_and_b32_e32 v16, 0xffff, v23
	s_delay_alu instid0(VALU_DEP_4)
	v_or_b32_e32 v2, v21, v8
	s_wait_alu 0xfffd
	v_cndmask_b32_e64 v9, 0, 1, vcc_lo
	v_lshl_or_b32 v21, v10, 12, v4
	v_cmp_gt_i32_e32 vcc_lo, 1, v10
	v_lshl_or_b32 v23, v15, 16, v16
	v_mul_f64_e32 v[12:13], s[8:9], v[12:13]
	v_and_or_b32 v22, 0xffe, v14, v9
	v_sub_nc_u32_e32 v14, 0x3f1, v17
	ds_load_2addr_b32 v[8:9], v20 offset0:106 offset1:169
	s_wait_alu 0xfffd
	v_cndmask_b32_e32 v2, v21, v2, vcc_lo
	v_add_co_u32 v0, vcc_lo, v0, s2
	v_or_b32_e32 v20, 0x1000, v22
	v_med3_i32 v14, v14, 0, 13
	s_delay_alu instid0(VALU_DEP_4)
	v_and_b32_e32 v19, 7, v2
	s_wait_alu 0xfffd
	v_add_co_ci_u32_e32 v1, vcc_lo, s3, v1, vcc_lo
	v_lshrrev_b32_e32 v2, 2, v2
	v_lshrrev_b32_e32 v21, v14, v20
	v_cmp_lt_i32_e32 vcc_lo, 5, v19
	v_cmp_eq_u32_e64 s0, 3, v19
	s_delay_alu instid0(VALU_DEP_3) | instskip(NEXT) | instid1(VALU_DEP_2)
	v_lshlrev_b32_e32 v14, v14, v21
	s_or_b32 vcc_lo, s0, vcc_lo
	s_wait_alu 0xfffe
	v_add_co_ci_u32_e32 v2, vcc_lo, 0, v2, vcc_lo
	s_delay_alu instid0(VALU_DEP_2)
	v_cmp_ne_u32_e64 s1, v14, v20
	v_add_nc_u32_e32 v20, 0xfffffc10, v17
	v_cmp_ne_u32_e32 vcc_lo, 0, v4
	s_wait_dscnt 0x0
	v_lshrrev_b32_e32 v19, 16, v8
	s_wait_alu 0xf1ff
	v_cndmask_b32_e64 v14, 0, 1, s1
	v_mul_f64_e32 v[6:7], s[8:9], v[6:7]
	v_lshl_or_b32 v16, v20, 12, v22
	s_wait_alu 0xfffd
	v_cndmask_b32_e64 v4, 0, 1, vcc_lo
	v_cmp_gt_i32_e32 vcc_lo, 1, v20
	v_or_b32_e32 v14, v21, v14
	v_mul_f16_e32 v15, v26, v19
	s_delay_alu instid0(VALU_DEP_4)
	v_lshl_or_b32 v4, v4, 9, 0x7c00
	v_and_or_b32 v12, 0x1ff, v13, v12
	s_wait_alu 0xfffd
	v_cndmask_b32_e32 v21, v16, v14, vcc_lo
	v_cmp_gt_i32_e32 vcc_lo, 31, v10
	v_fmac_f16_e32 v15, v27, v8
	v_mul_f16_e32 v8, v26, v8
	v_cmp_ne_u32_e64 s0, 0, v12
	v_and_b32_e32 v24, 7, v21
	s_wait_alu 0xfffd
	v_cndmask_b32_e32 v2, 0x7c00, v2, vcc_lo
	v_add_co_u32 v16, vcc_lo, v0, s4
	s_wait_alu 0xfffd
	v_add_co_ci_u32_e32 v17, vcc_lo, s5, v1, vcc_lo
	v_cvt_f32_f16_e32 v14, v15
	v_cmp_eq_u32_e32 vcc_lo, 0x40f, v10
	v_lshrrev_b32_e32 v10, 8, v13
	v_lshrrev_b32_e32 v21, 2, v21
	v_bfe_u32 v12, v13, 20, 11
	v_cvt_f64_f32_e32 v[14:15], v14
	s_wait_alu 0xfffd
	v_cndmask_b32_e32 v2, v2, v4, vcc_lo
	v_cmp_lt_i32_e32 vcc_lo, 5, v24
	s_wait_alu 0xf1ff
	v_cndmask_b32_e64 v4, 0, 1, s0
	v_cmp_eq_u32_e64 s0, 3, v24
	v_fma_f16 v8, v27, v19, -v8
	v_and_or_b32 v2, 0x8000, v5, v2
	global_store_b32 v[0:1], v18, off
	global_store_b32 v[16:17], v23, off
	v_and_or_b32 v24, 0xffe, v10, v4
	s_or_b32 vcc_lo, s0, vcc_lo
	v_sub_nc_u32_e32 v4, 0x3f1, v12
	s_wait_alu 0xfffe
	v_add_co_ci_u32_e32 v10, vcc_lo, 0, v21, vcc_lo
	v_cmp_ne_u32_e32 vcc_lo, 0, v22
	v_or_b32_e32 v22, 0x1000, v24
	v_med3_i32 v4, v4, 0, 13
	v_and_or_b32 v5, 0x1ff, v7, v6
	v_bfe_u32 v26, v7, 20, 11
	s_wait_alu 0xfffd
	v_cndmask_b32_e64 v21, 0, 1, vcc_lo
	v_cmp_gt_i32_e32 vcc_lo, 31, v20
	v_lshrrev_b32_e32 v25, v4, v22
	v_add_nc_u32_e32 v12, 0xfffffc10, v12
	v_cvt_f32_f16_e32 v8, v8
	v_lshl_or_b32 v21, v21, 9, 0x7c00
	s_wait_alu 0xfffd
	v_cndmask_b32_e32 v10, 0x7c00, v10, vcc_lo
	v_cmp_eq_u32_e32 vcc_lo, 0x40f, v20
	v_lshrrev_b32_e32 v20, 16, v11
	v_and_b32_e32 v2, 0xffff, v2
	v_cmp_eq_u32_e64 s1, 0x40f, v12
	v_lshrrev_b32_e32 v13, 16, v13
	s_wait_alu 0xfffd
	v_cndmask_b32_e32 v6, v10, v21, vcc_lo
	v_lshlrev_b32_e32 v10, v4, v25
	v_cmp_ne_u32_e32 vcc_lo, 0, v5
	v_lshrrev_b32_e32 v21, 8, v7
	v_lshrrev_b32_e32 v7, 16, v7
	v_and_or_b32 v6, 0x8000, v20, v6
	s_wait_alu 0xfffd
	v_cndmask_b32_e64 v11, 0, 1, vcc_lo
	v_cmp_ne_u32_e32 vcc_lo, v10, v22
	v_mul_f64_e32 v[4:5], s[8:9], v[14:15]
	v_sub_nc_u32_e32 v14, 0x3f1, v26
	v_lshl_or_b32 v18, v6, 16, v2
	v_and_or_b32 v19, 0xffe, v21, v11
	s_wait_alu 0xfffd
	v_cndmask_b32_e64 v10, 0, 1, vcc_lo
	v_lshl_or_b32 v21, v12, 12, v24
	v_cmp_gt_i32_e32 vcc_lo, 1, v12
	v_or_b32_e32 v22, 0x1000, v19
	s_delay_alu instid0(VALU_DEP_4)
	v_or_b32_e32 v15, v25, v10
	v_cvt_f64_f32_e32 v[10:11], v8
	v_med3_i32 v8, v14, 0, 13
	scratch_load_b32 v25, off, off offset:4 th:TH_LOAD_LU ; 4-byte Folded Reload
	s_wait_alu 0xfffd
	v_cndmask_b32_e32 v14, v21, v15, vcc_lo
	v_add_co_u32 v0, vcc_lo, v16, s2
	v_add_nc_u32_e32 v16, 0xfffffc10, v26
	scratch_load_b32 v26, off, off offset:16 th:TH_LOAD_LU ; 4-byte Folded Reload
	v_lshrrev_b32_e32 v15, v8, v22
	v_and_b32_e32 v2, 7, v14
	s_wait_alu 0xfffd
	v_add_co_ci_u32_e32 v1, vcc_lo, s3, v17, vcc_lo
	s_delay_alu instid0(VALU_DEP_3) | instskip(NEXT) | instid1(VALU_DEP_3)
	v_lshlrev_b32_e32 v6, v8, v15
	v_cmp_lt_i32_e32 vcc_lo, 5, v2
	v_lshrrev_b32_e32 v8, 16, v3
	s_delay_alu instid0(VALU_DEP_3) | instskip(SKIP_1) | instid1(VALU_DEP_1)
	v_cmp_ne_u32_e64 s0, v6, v22
	s_wait_alu 0xf1ff
	v_cndmask_b32_e64 v6, 0, 1, s0
	v_cmp_eq_u32_e64 s0, 3, v2
	v_lshrrev_b32_e32 v2, 2, v14
	v_lshl_or_b32 v14, v16, 12, v19
	v_and_or_b32 v4, 0x1ff, v5, v4
	v_or_b32_e32 v6, v15, v6
	s_or_b32 vcc_lo, s0, vcc_lo
	v_bfe_u32 v20, v5, 20, 11
	s_wait_alu 0xfffe
	v_add_co_ci_u32_e32 v2, vcc_lo, 0, v2, vcc_lo
	v_cmp_gt_i32_e32 vcc_lo, 1, v16
	v_mul_f64_e32 v[10:11], s[8:9], v[10:11]
	s_wait_alu 0xfffd
	v_cndmask_b32_e32 v6, v14, v6, vcc_lo
	v_cmp_ne_u32_e32 vcc_lo, 0, v4
	s_delay_alu instid0(VALU_DEP_2)
	v_and_b32_e32 v22, 7, v6
	s_wait_alu 0xfffd
	v_cndmask_b32_e64 v4, 0, 1, vcc_lo
	v_cmp_ne_u32_e32 vcc_lo, 0, v24
	v_lshrrev_b32_e32 v6, 2, v6
	v_cmp_eq_u32_e64 s0, 3, v22
	s_wait_alu 0xfffd
	v_cndmask_b32_e64 v21, 0, 1, vcc_lo
	v_cmp_gt_i32_e32 vcc_lo, 31, v12
	s_delay_alu instid0(VALU_DEP_2)
	v_lshl_or_b32 v21, v21, 9, 0x7c00
	s_wait_alu 0xfffd
	v_cndmask_b32_e32 v2, 0x7c00, v2, vcc_lo
	v_cmp_lt_i32_e32 vcc_lo, 5, v22
	scratch_load_b32 v22, off, off th:TH_LOAD_LU ; 4-byte Folded Reload
	v_cndmask_b32_e64 v2, v2, v21, s1
	s_or_b32 vcc_lo, s0, vcc_lo
	s_wait_alu 0xfffe
	v_add_co_ci_u32_e32 v6, vcc_lo, 0, v6, vcc_lo
	v_cmp_ne_u32_e32 vcc_lo, 0, v19
	v_and_or_b32 v13, 0x8000, v13, v2
	s_wait_alu 0xfffd
	v_cndmask_b32_e64 v19, 0, 1, vcc_lo
	v_cmp_gt_i32_e32 vcc_lo, 31, v16
	s_delay_alu instid0(VALU_DEP_3) | instskip(SKIP_1) | instid1(VALU_DEP_4)
	v_and_b32_e32 v13, 0xffff, v13
	v_and_or_b32 v10, 0x1ff, v11, v10
	v_lshl_or_b32 v19, v19, 9, 0x7c00
	s_wait_alu 0xfffd
	v_cndmask_b32_e32 v6, 0x7c00, v6, vcc_lo
	s_wait_loadcnt 0x1
	v_mul_f16_e32 v17, v26, v8
	s_delay_alu instid0(VALU_DEP_1) | instskip(NEXT) | instid1(VALU_DEP_1)
	v_fmac_f16_e32 v17, v25, v3
	v_cvt_f32_f16_e32 v15, v17
	v_lshrrev_b32_e32 v17, 8, v5
	s_delay_alu instid0(VALU_DEP_2) | instskip(NEXT) | instid1(VALU_DEP_2)
	v_cvt_f64_f32_e32 v[14:15], v15
	v_and_or_b32 v4, 0xffe, v17, v4
	v_sub_nc_u32_e32 v17, 0x3f1, v20
	v_add_nc_u32_e32 v20, 0xfffffc10, v20
	s_delay_alu instid0(VALU_DEP_3) | instskip(NEXT) | instid1(VALU_DEP_3)
	v_or_b32_e32 v23, 0x1000, v4
	v_med3_i32 v17, v17, 0, 13
	s_delay_alu instid0(VALU_DEP_1) | instskip(NEXT) | instid1(VALU_DEP_1)
	v_lshrrev_b32_e32 v12, v17, v23
	v_lshlrev_b32_e32 v17, v17, v12
	s_delay_alu instid0(VALU_DEP_1)
	v_cmp_ne_u32_e32 vcc_lo, v17, v23
	scratch_load_b32 v23, off, off offset:8 th:TH_LOAD_LU ; 4-byte Folded Reload
	s_wait_alu 0xfffd
	v_cndmask_b32_e64 v17, 0, 1, vcc_lo
	v_cmp_eq_u32_e32 vcc_lo, 0x40f, v16
	v_mul_f16_e32 v16, v26, v3
	s_delay_alu instid0(VALU_DEP_3) | instskip(SKIP_2) | instid1(VALU_DEP_3)
	v_or_b32_e32 v12, v12, v17
	s_wait_alu 0xfffd
	v_cndmask_b32_e32 v6, v6, v19, vcc_lo
	v_fma_f16 v8, v25, v8, -v16
	v_cmp_gt_i32_e32 vcc_lo, 1, v20
	v_mul_f64_e32 v[2:3], s[8:9], v[14:15]
	v_lshl_or_b32 v14, v20, 12, v4
	s_delay_alu instid0(VALU_DEP_4)
	v_cvt_f32_f16_e32 v8, v8
	v_bfe_u32 v15, v11, 20, 11
	v_and_or_b32 v16, 0x8000, v7, v6
	s_wait_alu 0xfffd
	v_cndmask_b32_e32 v12, v14, v12, vcc_lo
	v_cmp_ne_u32_e32 vcc_lo, 0, v10
	v_lshrrev_b32_e32 v14, 8, v11
	v_cvt_f64_f32_e32 v[6:7], v8
	v_sub_nc_u32_e32 v8, 0x3f1, v15
	v_and_b32_e32 v17, 7, v12
	s_wait_alu 0xfffd
	v_cndmask_b32_e64 v10, 0, 1, vcc_lo
	v_lshrrev_b32_e32 v12, 2, v12
	v_lshl_or_b32 v16, v16, 16, v13
	v_med3_i32 v8, v8, 0, 13
	v_cmp_lt_i32_e32 vcc_lo, 5, v17
	v_and_or_b32 v10, 0xffe, v14, v10
	v_lshrrev_b32_e32 v14, 16, v9
	v_cmp_eq_u32_e64 s0, 3, v17
	v_add_nc_u32_e32 v15, 0xfffffc10, v15
	v_lshrrev_b32_e32 v11, 16, v11
	v_or_b32_e32 v19, 0x1000, v10
	s_delay_alu instid0(VALU_DEP_4) | instskip(SKIP_2) | instid1(VALU_DEP_2)
	s_or_b32 vcc_lo, s0, vcc_lo
	s_wait_alu 0xfffe
	v_add_co_ci_u32_e32 v12, vcc_lo, 0, v12, vcc_lo
	v_lshrrev_b32_e32 v17, v8, v19
	v_cmp_ne_u32_e32 vcc_lo, 0, v4
	s_delay_alu instid0(VALU_DEP_2) | instskip(SKIP_4) | instid1(VALU_DEP_3)
	v_lshlrev_b32_e32 v8, v8, v17
	s_wait_alu 0xfffd
	v_cndmask_b32_e64 v4, 0, 1, vcc_lo
	v_cmp_gt_i32_e32 vcc_lo, 31, v20
	v_and_or_b32 v2, 0x1ff, v3, v2
	v_lshl_or_b32 v4, v4, 9, 0x7c00
	v_mul_f64_e32 v[6:7], s[8:9], v[6:7]
	s_delay_alu instid0(VALU_DEP_1) | instskip(SKIP_2) | instid1(VALU_DEP_1)
	v_and_or_b32 v6, 0x1ff, v7, v6
	s_wait_loadcnt 0x0
	v_mul_f16_e32 v21, v23, v14
	v_fmac_f16_e32 v21, v22, v9
	v_mul_f16_e32 v9, v23, v9
	s_delay_alu instid0(VALU_DEP_2)
	v_cvt_f32_f16_e32 v13, v21
	s_wait_alu 0xfffd
	v_cndmask_b32_e32 v21, 0x7c00, v12, vcc_lo
	v_cmp_ne_u32_e32 vcc_lo, v8, v19
	v_lshrrev_b32_e32 v19, 8, v3
	v_fma_f16 v9, v22, v14, -v9
	v_cvt_f64_f32_e32 v[12:13], v13
	v_lshl_or_b32 v14, v15, 12, v10
	s_wait_alu 0xfffd
	v_cndmask_b32_e64 v8, 0, 1, vcc_lo
	v_cmp_ne_u32_e32 vcc_lo, 0, v2
	v_cvt_f32_f16_e32 v9, v9
	s_delay_alu instid0(VALU_DEP_3)
	v_or_b32_e32 v8, v17, v8
	s_wait_alu 0xfffd
	v_cndmask_b32_e64 v2, 0, 1, vcc_lo
	v_bfe_u32 v17, v3, 20, 11
	v_cmp_gt_i32_e32 vcc_lo, 1, v15
	v_lshrrev_b32_e32 v3, 16, v3
	s_delay_alu instid0(VALU_DEP_4) | instskip(NEXT) | instid1(VALU_DEP_4)
	v_and_or_b32 v2, 0xffe, v19, v2
	v_sub_nc_u32_e32 v19, 0x3f1, v17
	s_wait_alu 0xfffd
	v_cndmask_b32_e32 v14, v14, v8, vcc_lo
	v_cmp_eq_u32_e32 vcc_lo, 0x40f, v20
	v_cvt_f64_f32_e32 v[8:9], v9
	v_or_b32_e32 v22, 0x1000, v2
	v_med3_i32 v19, v19, 0, 13
	s_wait_alu 0xfffd
	v_dual_cndmask_b32 v20, v21, v4 :: v_dual_and_b32 v23, 7, v14
	v_add_co_u32 v4, vcc_lo, v0, s4
	s_delay_alu instid0(VALU_DEP_3)
	v_lshrrev_b32_e32 v24, v19, v22
	v_lshrrev_b32_e32 v21, 16, v5
	s_wait_alu 0xfffd
	v_add_co_ci_u32_e32 v5, vcc_lo, s5, v1, vcc_lo
	v_cmp_lt_i32_e32 vcc_lo, 5, v23
	v_cmp_eq_u32_e64 s0, 3, v23
	v_lshrrev_b32_e32 v14, 2, v14
	v_lshlrev_b32_e32 v19, v19, v24
	v_add_nc_u32_e32 v17, 0xfffffc10, v17
	v_and_or_b32 v20, 0x8000, v21, v20
	s_or_b32 vcc_lo, s0, vcc_lo
	s_wait_alu 0xfffe
	v_add_co_ci_u32_e32 v14, vcc_lo, 0, v14, vcc_lo
	v_cmp_ne_u32_e64 s1, v19, v22
	v_cmp_ne_u32_e32 vcc_lo, 0, v10
	v_mul_f64_e32 v[12:13], s[8:9], v[12:13]
	v_lshl_or_b32 v21, v17, 12, v2
	s_wait_alu 0xf1ff
	v_cndmask_b32_e64 v19, 0, 1, s1
	s_wait_alu 0xfffd
	v_cndmask_b32_e64 v10, 0, 1, vcc_lo
	v_cmp_gt_i32_e32 vcc_lo, 31, v15
	s_delay_alu instid0(VALU_DEP_3) | instskip(NEXT) | instid1(VALU_DEP_3)
	v_or_b32_e32 v19, v24, v19
	v_lshl_or_b32 v10, v10, 9, 0x7c00
	s_wait_alu 0xfffd
	v_cndmask_b32_e32 v14, 0x7c00, v14, vcc_lo
	v_cmp_gt_i32_e32 vcc_lo, 1, v17
	v_mul_f64_e32 v[8:9], s[8:9], v[8:9]
	s_wait_alu 0xfffd
	v_cndmask_b32_e32 v19, v21, v19, vcc_lo
	v_cmp_eq_u32_e32 vcc_lo, 0x40f, v15
	v_lshrrev_b32_e32 v15, 8, v7
	v_bfe_u32 v21, v7, 20, 11
	v_lshrrev_b32_e32 v7, 16, v7
	s_wait_alu 0xfffd
	v_cndmask_b32_e32 v10, v14, v10, vcc_lo
	v_cmp_ne_u32_e32 vcc_lo, 0, v6
	v_and_b32_e32 v14, 7, v19
	s_delay_alu instid0(VALU_DEP_3)
	v_and_or_b32 v10, 0x8000, v11, v10
	v_and_b32_e32 v11, 0xffff, v20
	s_wait_alu 0xfffd
	v_cndmask_b32_e64 v6, 0, 1, vcc_lo
	v_cmp_lt_i32_e32 vcc_lo, 5, v14
	v_cmp_eq_u32_e64 s0, 3, v14
	v_lshl_or_b32 v10, v10, 16, v11
	v_lshrrev_b32_e32 v11, 2, v19
	v_and_or_b32 v6, 0xffe, v15, v6
	v_sub_nc_u32_e32 v15, 0x3f1, v21
	s_or_b32 vcc_lo, s0, vcc_lo
	v_and_or_b32 v12, 0x1ff, v13, v12
	s_wait_alu 0xfffe
	v_add_co_ci_u32_e32 v11, vcc_lo, 0, v11, vcc_lo
	v_or_b32_e32 v14, 0x1000, v6
	v_med3_i32 v15, v15, 0, 13
	v_cmp_ne_u32_e32 vcc_lo, 0, v2
	v_lshrrev_b32_e32 v20, 8, v13
	v_bfe_u32 v22, v13, 20, 11
	s_delay_alu instid0(VALU_DEP_4) | instskip(SKIP_3) | instid1(VALU_DEP_3)
	v_lshrrev_b32_e32 v19, v15, v14
	s_wait_alu 0xfffd
	v_cndmask_b32_e64 v2, 0, 1, vcc_lo
	v_cmp_gt_i32_e32 vcc_lo, 31, v17
	v_lshlrev_b32_e32 v15, v15, v19
	s_delay_alu instid0(VALU_DEP_3)
	v_lshl_or_b32 v2, v2, 9, 0x7c00
	s_wait_alu 0xfffd
	v_cndmask_b32_e32 v11, 0x7c00, v11, vcc_lo
	v_cmp_ne_u32_e32 vcc_lo, 0, v12
	v_and_or_b32 v8, 0x1ff, v9, v8
	s_wait_alu 0xfffd
	v_cndmask_b32_e64 v12, 0, 1, vcc_lo
	v_cmp_ne_u32_e32 vcc_lo, v15, v14
	v_add_nc_u32_e32 v15, 0xfffffc10, v21
	v_bfe_u32 v21, v9, 20, 11
	s_delay_alu instid0(VALU_DEP_4)
	v_and_or_b32 v12, 0xffe, v20, v12
	s_wait_alu 0xfffd
	v_cndmask_b32_e64 v14, 0, 1, vcc_lo
	v_sub_nc_u32_e32 v20, 0x3f1, v22
	v_cmp_eq_u32_e32 vcc_lo, 0x40f, v17
	v_or_b32_e32 v17, 0x1000, v12
	s_wait_alu 0xfffd
	v_cndmask_b32_e32 v2, v11, v2, vcc_lo
	v_or_b32_e32 v11, v19, v14
	v_lshl_or_b32 v14, v15, 12, v6
	v_med3_i32 v19, v20, 0, 13
	v_cmp_gt_i32_e32 vcc_lo, 1, v15
	v_lshrrev_b32_e32 v20, 8, v9
	v_and_or_b32 v2, 0x8000, v3, v2
	v_lshrrev_b32_e32 v9, 16, v9
	s_wait_alu 0xfffd
	v_cndmask_b32_e32 v11, v14, v11, vcc_lo
	v_lshrrev_b32_e32 v14, v19, v17
	v_cmp_ne_u32_e32 vcc_lo, 0, v8
	s_delay_alu instid0(VALU_DEP_3) | instskip(NEXT) | instid1(VALU_DEP_3)
	v_and_b32_e32 v23, 7, v11
	v_lshlrev_b32_e32 v19, v19, v14
	s_wait_alu 0xfffd
	v_cndmask_b32_e64 v8, 0, 1, vcc_lo
	v_lshrrev_b32_e32 v11, 2, v11
	v_cmp_lt_i32_e32 vcc_lo, 5, v23
	v_cmp_ne_u32_e64 s0, v19, v17
	s_delay_alu instid0(VALU_DEP_4)
	v_and_or_b32 v3, 0xffe, v20, v8
	v_sub_nc_u32_e32 v8, 0x3f1, v21
	v_add_nc_u32_e32 v20, 0xfffffc10, v22
	s_wait_alu 0xf1ff
	v_cndmask_b32_e64 v17, 0, 1, s0
	v_cmp_eq_u32_e64 s0, 3, v23
	v_or_b32_e32 v19, 0x1000, v3
	v_med3_i32 v8, v8, 0, 13
	v_lshl_or_b32 v22, v20, 12, v12
	v_or_b32_e32 v14, v14, v17
	s_or_b32 vcc_lo, s0, vcc_lo
	s_wait_alu 0xfffe
	v_add_co_ci_u32_e32 v11, vcc_lo, 0, v11, vcc_lo
	v_lshrrev_b32_e32 v17, v8, v19
	v_cmp_gt_i32_e32 vcc_lo, 1, v20
	s_delay_alu instid0(VALU_DEP_2)
	v_lshlrev_b32_e32 v8, v8, v17
	s_wait_alu 0xfffd
	v_cndmask_b32_e32 v14, v22, v14, vcc_lo
	v_cmp_ne_u32_e32 vcc_lo, 0, v6
	s_wait_alu 0xfffd
	v_cndmask_b32_e64 v6, 0, 1, vcc_lo
	v_cmp_ne_u32_e32 vcc_lo, v8, v19
	v_add_nc_u32_e32 v19, 0xfffffc10, v21
	v_and_b32_e32 v21, 7, v14
	s_delay_alu instid0(VALU_DEP_4)
	v_lshl_or_b32 v6, v6, 9, 0x7c00
	s_wait_alu 0xfffd
	v_cndmask_b32_e64 v8, 0, 1, vcc_lo
	v_cmp_gt_i32_e32 vcc_lo, 31, v15
	v_cmp_gt_i32_e64 s1, 1, v19
	v_cmp_eq_u32_e64 s0, 3, v21
	s_delay_alu instid0(VALU_DEP_4)
	v_or_b32_e32 v8, v17, v8
	v_lshl_or_b32 v17, v19, 12, v3
	s_wait_alu 0xfffd
	v_cndmask_b32_e32 v11, 0x7c00, v11, vcc_lo
	v_cmp_lt_i32_e32 vcc_lo, 5, v21
	s_wait_alu 0xf1ff
	v_cndmask_b32_e64 v8, v17, v8, s1
	v_cmp_eq_u32_e64 s1, 0x40f, v15
	s_or_b32 vcc_lo, s0, vcc_lo
	s_delay_alu instid0(VALU_DEP_1)
	v_cndmask_b32_e64 v6, v11, v6, s1
	v_lshrrev_b32_e32 v11, 2, v14
	v_and_b32_e32 v14, 7, v8
	v_lshrrev_b32_e32 v8, 2, v8
	v_cmp_gt_i32_e64 s1, 31, v20
	v_and_or_b32 v6, 0x8000, v7, v6
	s_wait_alu 0xfffe
	v_add_co_ci_u32_e32 v11, vcc_lo, 0, v11, vcc_lo
	v_cmp_ne_u32_e32 vcc_lo, 0, v12
	v_cmp_eq_u32_e64 s0, 3, v14
	v_and_b32_e32 v7, 0xffff, v2
	s_wait_alu 0xf1ff
	v_cndmask_b32_e64 v11, 0x7c00, v11, s1
	s_wait_alu 0xfffd
	v_cndmask_b32_e64 v12, 0, 1, vcc_lo
	v_cmp_lt_i32_e32 vcc_lo, 5, v14
	s_delay_alu instid0(VALU_DEP_2)
	v_lshl_or_b32 v12, v12, 9, 0x7c00
	s_or_b32 vcc_lo, s0, vcc_lo
	s_wait_alu 0xfffe
	v_add_co_ci_u32_e32 v8, vcc_lo, 0, v8, vcc_lo
	v_cmp_ne_u32_e32 vcc_lo, 0, v3
	s_wait_alu 0xfffd
	v_cndmask_b32_e64 v3, 0, 1, vcc_lo
	v_cmp_eq_u32_e32 vcc_lo, 0x40f, v20
	s_delay_alu instid0(VALU_DEP_2)
	v_lshl_or_b32 v3, v3, 9, 0x7c00
	s_wait_alu 0xfffd
	v_cndmask_b32_e32 v11, v11, v12, vcc_lo
	v_cmp_gt_i32_e32 vcc_lo, 31, v19
	v_lshrrev_b32_e32 v12, 16, v13
	s_wait_alu 0xfffd
	v_cndmask_b32_e32 v8, 0x7c00, v8, vcc_lo
	v_cmp_eq_u32_e32 vcc_lo, 0x40f, v19
	s_delay_alu instid0(VALU_DEP_3)
	v_and_or_b32 v11, 0x8000, v12, v11
	v_lshl_or_b32 v12, v6, 16, v7
	s_wait_alu 0xfffd
	v_cndmask_b32_e32 v8, v8, v3, vcc_lo
	v_add_co_u32 v2, vcc_lo, v4, s2
	s_wait_alu 0xfffd
	v_add_co_ci_u32_e32 v3, vcc_lo, s3, v5, vcc_lo
	s_delay_alu instid0(VALU_DEP_3) | instskip(SKIP_4) | instid1(VALU_DEP_3)
	v_and_or_b32 v8, 0x8000, v9, v8
	v_and_b32_e32 v9, 0xffff, v11
	v_add_co_u32 v6, vcc_lo, v2, s4
	s_wait_alu 0xfffd
	v_add_co_ci_u32_e32 v7, vcc_lo, s5, v3, vcc_lo
	v_lshl_or_b32 v11, v8, 16, v9
	s_delay_alu instid0(VALU_DEP_3) | instskip(SKIP_1) | instid1(VALU_DEP_3)
	v_add_co_u32 v8, vcc_lo, v6, s2
	s_wait_alu 0xfffd
	v_add_co_ci_u32_e32 v9, vcc_lo, s3, v7, vcc_lo
	global_store_b32 v[0:1], v18, off
	global_store_b32 v[4:5], v16, off
	;; [unrolled: 1-line block ×5, first 2 shown]
.LBB0_10:
	s_nop 0
	s_sendmsg sendmsg(MSG_DEALLOC_VGPRS)
	s_endpgm
	.section	.rodata,"a",@progbits
	.p2align	6, 0x0
	.amdhsa_kernel bluestein_single_fwd_len1512_dim1_half_op_CI_CI
		.amdhsa_group_segment_fixed_size 6048
		.amdhsa_private_segment_fixed_size 296
		.amdhsa_kernarg_size 104
		.amdhsa_user_sgpr_count 2
		.amdhsa_user_sgpr_dispatch_ptr 0
		.amdhsa_user_sgpr_queue_ptr 0
		.amdhsa_user_sgpr_kernarg_segment_ptr 1
		.amdhsa_user_sgpr_dispatch_id 0
		.amdhsa_user_sgpr_private_segment_size 0
		.amdhsa_wavefront_size32 1
		.amdhsa_uses_dynamic_stack 0
		.amdhsa_enable_private_segment 1
		.amdhsa_system_sgpr_workgroup_id_x 1
		.amdhsa_system_sgpr_workgroup_id_y 0
		.amdhsa_system_sgpr_workgroup_id_z 0
		.amdhsa_system_sgpr_workgroup_info 0
		.amdhsa_system_vgpr_workitem_id 0
		.amdhsa_next_free_vgpr 256
		.amdhsa_next_free_sgpr 20
		.amdhsa_reserve_vcc 1
		.amdhsa_float_round_mode_32 0
		.amdhsa_float_round_mode_16_64 0
		.amdhsa_float_denorm_mode_32 3
		.amdhsa_float_denorm_mode_16_64 3
		.amdhsa_fp16_overflow 0
		.amdhsa_workgroup_processor_mode 1
		.amdhsa_memory_ordered 1
		.amdhsa_forward_progress 0
		.amdhsa_round_robin_scheduling 0
		.amdhsa_exception_fp_ieee_invalid_op 0
		.amdhsa_exception_fp_denorm_src 0
		.amdhsa_exception_fp_ieee_div_zero 0
		.amdhsa_exception_fp_ieee_overflow 0
		.amdhsa_exception_fp_ieee_underflow 0
		.amdhsa_exception_fp_ieee_inexact 0
		.amdhsa_exception_int_div_zero 0
	.end_amdhsa_kernel
	.text
.Lfunc_end0:
	.size	bluestein_single_fwd_len1512_dim1_half_op_CI_CI, .Lfunc_end0-bluestein_single_fwd_len1512_dim1_half_op_CI_CI
                                        ; -- End function
	.section	.AMDGPU.csdata,"",@progbits
; Kernel info:
; codeLenInByte = 50068
; NumSgprs: 22
; NumVgprs: 256
; ScratchSize: 296
; MemoryBound: 0
; FloatMode: 240
; IeeeMode: 1
; LDSByteSize: 6048 bytes/workgroup (compile time only)
; SGPRBlocks: 2
; VGPRBlocks: 31
; NumSGPRsForWavesPerEU: 22
; NumVGPRsForWavesPerEU: 256
; Occupancy: 5
; WaveLimiterHint : 1
; COMPUTE_PGM_RSRC2:SCRATCH_EN: 1
; COMPUTE_PGM_RSRC2:USER_SGPR: 2
; COMPUTE_PGM_RSRC2:TRAP_HANDLER: 0
; COMPUTE_PGM_RSRC2:TGID_X_EN: 1
; COMPUTE_PGM_RSRC2:TGID_Y_EN: 0
; COMPUTE_PGM_RSRC2:TGID_Z_EN: 0
; COMPUTE_PGM_RSRC2:TIDIG_COMP_CNT: 0
	.text
	.p2alignl 7, 3214868480
	.fill 96, 4, 3214868480
	.type	__hip_cuid_35e83b0de2751e14,@object ; @__hip_cuid_35e83b0de2751e14
	.section	.bss,"aw",@nobits
	.globl	__hip_cuid_35e83b0de2751e14
__hip_cuid_35e83b0de2751e14:
	.byte	0                               ; 0x0
	.size	__hip_cuid_35e83b0de2751e14, 1

	.ident	"AMD clang version 19.0.0git (https://github.com/RadeonOpenCompute/llvm-project roc-6.4.0 25133 c7fe45cf4b819c5991fe208aaa96edf142730f1d)"
	.section	".note.GNU-stack","",@progbits
	.addrsig
	.addrsig_sym __hip_cuid_35e83b0de2751e14
	.amdgpu_metadata
---
amdhsa.kernels:
  - .args:
      - .actual_access:  read_only
        .address_space:  global
        .offset:         0
        .size:           8
        .value_kind:     global_buffer
      - .actual_access:  read_only
        .address_space:  global
        .offset:         8
        .size:           8
        .value_kind:     global_buffer
      - .actual_access:  read_only
        .address_space:  global
        .offset:         16
        .size:           8
        .value_kind:     global_buffer
      - .actual_access:  read_only
        .address_space:  global
        .offset:         24
        .size:           8
        .value_kind:     global_buffer
      - .actual_access:  read_only
        .address_space:  global
        .offset:         32
        .size:           8
        .value_kind:     global_buffer
      - .offset:         40
        .size:           8
        .value_kind:     by_value
      - .address_space:  global
        .offset:         48
        .size:           8
        .value_kind:     global_buffer
      - .address_space:  global
        .offset:         56
        .size:           8
        .value_kind:     global_buffer
      - .address_space:  global
        .offset:         64
        .size:           8
        .value_kind:     global_buffer
      - .address_space:  global
        .offset:         72
        .size:           8
        .value_kind:     global_buffer
      - .offset:         80
        .size:           4
        .value_kind:     by_value
      - .address_space:  global
        .offset:         88
        .size:           8
        .value_kind:     global_buffer
      - .address_space:  global
        .offset:         96
        .size:           8
        .value_kind:     global_buffer
    .group_segment_fixed_size: 6048
    .kernarg_segment_align: 8
    .kernarg_segment_size: 104
    .language:       OpenCL C
    .language_version:
      - 2
      - 0
    .max_flat_workgroup_size: 63
    .name:           bluestein_single_fwd_len1512_dim1_half_op_CI_CI
    .private_segment_fixed_size: 296
    .sgpr_count:     22
    .sgpr_spill_count: 0
    .symbol:         bluestein_single_fwd_len1512_dim1_half_op_CI_CI.kd
    .uniform_work_group_size: 1
    .uses_dynamic_stack: false
    .vgpr_count:     256
    .vgpr_spill_count: 73
    .wavefront_size: 32
    .workgroup_processor_mode: 1
amdhsa.target:   amdgcn-amd-amdhsa--gfx1201
amdhsa.version:
  - 1
  - 2
...

	.end_amdgpu_metadata
